;; amdgpu-corpus repo=ROCm/rocFFT kind=compiled arch=gfx1030 opt=O3
	.text
	.amdgcn_target "amdgcn-amd-amdhsa--gfx1030"
	.amdhsa_code_object_version 6
	.protected	bluestein_single_fwd_len3888_dim1_sp_op_CI_CI ; -- Begin function bluestein_single_fwd_len3888_dim1_sp_op_CI_CI
	.globl	bluestein_single_fwd_len3888_dim1_sp_op_CI_CI
	.p2align	8
	.type	bluestein_single_fwd_len3888_dim1_sp_op_CI_CI,@function
bluestein_single_fwd_len3888_dim1_sp_op_CI_CI: ; @bluestein_single_fwd_len3888_dim1_sp_op_CI_CI
; %bb.0:
	s_load_dwordx4 s[0:3], s[4:5], 0x28
	v_mul_u32_u24_e32 v1, 0x195, v0
	v_mov_b32_e32 v113, 0
	v_lshrrev_b32_e32 v1, 17, v1
	v_add_nc_u32_e32 v112, s6, v1
	s_waitcnt lgkmcnt(0)
	v_cmp_gt_u64_e32 vcc_lo, s[0:1], v[112:113]
	s_and_saveexec_b32 s0, vcc_lo
	s_cbranch_execz .LBB0_17
; %bb.1:
	s_clause 0x1
	s_load_dwordx2 s[14:15], s[4:5], 0x0
	s_load_dwordx2 s[12:13], s[4:5], 0x38
	v_mul_lo_u16 v1, 0x144, v1
	v_sub_nc_u16 v0, v0, v1
	v_and_b32_e32 v114, 0xffff, v0
	v_cmp_lt_u16_e64 s0, 0xf2, v0
	v_cmp_gt_u16_e32 vcc_lo, 0xf3, v0
	v_lshlrev_b32_e32 v113, 3, v114
	s_and_saveexec_b32 s6, vcc_lo
	s_cbranch_execz .LBB0_3
; %bb.2:
	s_load_dwordx2 s[8:9], s[4:5], 0x18
	s_waitcnt lgkmcnt(0)
	v_add_co_u32 v60, s1, s14, v113
	v_add_co_ci_u32_e64 v61, null, s15, 0, s1
	v_add_nc_u32_e32 v66, 0xf00, v113
	v_add_co_u32 v4, s1, 0x800, v60
	v_add_co_ci_u32_e64 v5, s1, 0, v61, s1
	v_add_co_u32 v6, s1, 0x1000, v60
	v_add_co_ci_u32_e64 v7, s1, 0, v61, s1
	;; [unrolled: 2-line block ×3, first 2 shown]
	v_add_co_u32 v10, s1, 0x2000, v60
	s_load_dwordx4 s[8:11], s[8:9], 0x0
	v_add_co_ci_u32_e64 v11, s1, 0, v61, s1
	v_add_co_u32 v14, s1, 0x2800, v60
	v_add_co_ci_u32_e64 v15, s1, 0, v61, s1
	v_add_co_u32 v18, s1, 0x3000, v60
	;; [unrolled: 2-line block ×3, first 2 shown]
	v_add_co_ci_u32_e64 v21, s1, 0, v61, s1
	s_clause 0x5
	global_load_dwordx2 v[0:1], v113, s[14:15]
	global_load_dwordx2 v[2:3], v113, s[14:15] offset:1944
	global_load_dwordx2 v[4:5], v[4:5], off offset:1840
	global_load_dwordx2 v[6:7], v[6:7], off offset:1736
	;; [unrolled: 1-line block ×4, first 2 shown]
	v_add_nc_u32_e32 v67, 0x1e00, v113
	v_add_nc_u32_e32 v68, 0x2d80, v113
	s_waitcnt lgkmcnt(0)
	v_mad_u64_u32 v[12:13], null, s10, v112, 0
	v_mad_u64_u32 v[16:17], null, s8, v114, 0
	s_mul_i32 s7, s9, 0x798
	v_add_nc_u32_e32 v69, 0x3c80, v113
	v_add_nc_u32_e32 v70, 0x4bc0, v113
	;; [unrolled: 1-line block ×3, first 2 shown]
	v_mad_u64_u32 v[22:23], null, s11, v112, v[13:14]
	global_load_dwordx2 v[14:15], v[14:15], off offset:1424
	v_mad_u64_u32 v[25:26], null, s9, v114, v[17:18]
	s_clause 0x1
	global_load_dwordx2 v[18:19], v[18:19], off offset:1320
	global_load_dwordx2 v[20:21], v[20:21], off offset:1216
	v_add_co_u32 v23, s1, 0x4000, v60
	v_mov_b32_e32 v13, v22
	v_add_co_ci_u32_e64 v24, s1, 0, v61, s1
	v_mov_b32_e32 v17, v25
	v_add_co_u32 v26, s1, 0x4800, v60
	v_lshlrev_b64 v[12:13], 3, v[12:13]
	v_add_co_ci_u32_e64 v27, s1, 0, v61, s1
	v_lshlrev_b64 v[16:17], 3, v[16:17]
	s_mul_hi_u32 s9, s8, 0x798
	s_clause 0x1
	global_load_dwordx2 v[22:23], v[23:24], off offset:1112
	global_load_dwordx2 v[26:27], v[26:27], off offset:1008
	v_add_co_u32 v12, s1, s2, v12
	v_add_co_ci_u32_e64 v13, s1, s3, v13, s1
	s_mul_i32 s2, s8, 0x798
	v_add_co_u32 v12, s1, v12, v16
	v_add_co_ci_u32_e64 v13, s1, v13, v17, s1
	s_add_i32 s9, s9, s7
	v_add_co_u32 v16, s1, v12, s2
	v_add_co_ci_u32_e64 v17, s1, s9, v13, s1
	v_add_co_u32 v28, s1, v16, s2
	v_add_co_ci_u32_e64 v29, s1, s9, v17, s1
	;; [unrolled: 2-line block ×3, first 2 shown]
	s_clause 0x2
	global_load_dwordx2 v[12:13], v[12:13], off
	global_load_dwordx2 v[16:17], v[16:17], off
	;; [unrolled: 1-line block ×3, first 2 shown]
	v_add_co_u32 v32, s1, v30, s2
	v_add_co_ci_u32_e64 v33, s1, s9, v31, s1
	global_load_dwordx2 v[30:31], v[30:31], off
	v_add_co_u32 v24, s1, v32, s2
	v_add_co_ci_u32_e64 v25, s1, s9, v33, s1
	global_load_dwordx2 v[32:33], v[32:33], off
	;; [unrolled: 3-line block ×4, first 2 shown]
	v_add_co_u32 v38, s1, v36, s2
	v_add_co_ci_u32_e64 v39, s1, s9, v37, s1
	v_add_co_u32 v40, s1, v38, s2
	v_add_co_ci_u32_e64 v41, s1, s9, v39, s1
	;; [unrolled: 2-line block ×5, first 2 shown]
	global_load_dwordx2 v[36:37], v[36:37], off
	global_load_dwordx2 v[38:39], v[38:39], off
	;; [unrolled: 1-line block ×5, first 2 shown]
	v_add_co_u32 v44, s1, v44, s2
	v_add_co_ci_u32_e64 v45, s1, s9, v45, s1
	v_add_co_u32 v50, s1, 0x5800, v60
	v_add_co_ci_u32_e64 v51, s1, 0, v61, s1
	;; [unrolled: 2-line block ×4, first 2 shown]
	global_load_dwordx2 v[48:49], v[48:49], off offset:904
	global_load_dwordx2 v[44:45], v[44:45], off
	global_load_dwordx2 v[50:51], v[50:51], off offset:800
	global_load_dwordx2 v[56:57], v[52:53], off
	global_load_dwordx2 v[54:55], v[54:55], off offset:696
	v_add_co_u32 v52, s1, v52, s2
	v_add_co_ci_u32_e64 v53, s1, s9, v53, s1
	v_add_co_u32 v58, s1, 0x6800, v60
	v_add_co_ci_u32_e64 v59, s1, 0, v61, s1
	;; [unrolled: 2-line block ×4, first 2 shown]
	global_load_dwordx2 v[52:53], v[52:53], off
	s_clause 0x1
	global_load_dwordx2 v[58:59], v[58:59], off offset:592
	global_load_dwordx2 v[60:61], v[60:61], off offset:488
	global_load_dwordx2 v[62:63], v[62:63], off
	s_waitcnt vmcnt(20)
	v_mul_f32_e32 v64, v13, v1
	v_mul_f32_e32 v1, v12, v1
	s_waitcnt vmcnt(19)
	v_mul_f32_e32 v72, v16, v3
	v_fmac_f32_e32 v64, v12, v0
	v_fma_f32 v65, v13, v0, -v1
	v_mul_f32_e32 v0, v17, v3
	s_waitcnt vmcnt(18)
	v_mul_f32_e32 v3, v29, v5
	v_mul_f32_e32 v5, v28, v5
	s_waitcnt vmcnt(17)
	v_mul_f32_e32 v13, v30, v7
	v_mul_f32_e32 v12, v31, v7
	v_fma_f32 v1, v17, v2, -v72
	v_fmac_f32_e32 v0, v16, v2
	v_fmac_f32_e32 v3, v28, v4
	v_fma_f32 v4, v29, v4, -v5
	s_waitcnt vmcnt(16)
	v_mul_f32_e32 v5, v33, v9
	v_mul_f32_e32 v2, v32, v9
	s_waitcnt vmcnt(15)
	v_mul_f32_e32 v7, v25, v11
	v_mul_f32_e32 v9, v24, v11
	v_fma_f32 v13, v31, v6, -v13
	v_fmac_f32_e32 v12, v30, v6
	v_fmac_f32_e32 v5, v32, v8
	v_fma_f32 v6, v33, v8, -v2
	v_fmac_f32_e32 v7, v24, v10
	v_fma_f32 v8, v25, v10, -v9
	ds_write2_b64 v113, v[64:65], v[0:1] offset1:243
	ds_write2_b64 v66, v[3:4], v[12:13] offset0:6 offset1:249
	s_waitcnt vmcnt(14)
	v_mul_f32_e32 v0, v35, v15
	v_mul_f32_e32 v1, v34, v15
	ds_write2_b64 v67, v[5:6], v[7:8] offset0:12 offset1:255
	v_fmac_f32_e32 v0, v34, v14
	v_fma_f32 v1, v35, v14, -v1
	s_waitcnt vmcnt(13)
	v_mul_f32_e32 v2, v37, v19
	v_mul_f32_e32 v3, v36, v19
	s_waitcnt vmcnt(12)
	v_mul_f32_e32 v4, v39, v21
	v_mul_f32_e32 v5, v38, v21
	s_waitcnt vmcnt(11)
	v_mul_f32_e32 v6, v41, v23
	v_mul_f32_e32 v7, v40, v23
	s_waitcnt vmcnt(10)
	v_mul_f32_e32 v8, v43, v27
	v_mul_f32_e32 v9, v42, v27
	v_fmac_f32_e32 v2, v36, v18
	v_fma_f32 v3, v37, v18, -v3
	v_fmac_f32_e32 v4, v38, v20
	v_fma_f32 v5, v39, v20, -v5
	;; [unrolled: 2-line block ×4, first 2 shown]
	v_add_nc_u32_e32 v20, 0x6a00, v113
	s_waitcnt vmcnt(8)
	v_mul_f32_e32 v10, v47, v49
	v_mul_f32_e32 v11, v46, v49
	s_waitcnt vmcnt(6)
	v_mul_f32_e32 v12, v45, v51
	v_mul_f32_e32 v13, v44, v51
	;; [unrolled: 3-line block ×3, first 2 shown]
	v_fmac_f32_e32 v10, v46, v48
	v_fma_f32 v11, v47, v48, -v11
	v_fmac_f32_e32 v12, v44, v50
	v_fma_f32 v13, v45, v50, -v13
	;; [unrolled: 2-line block ×3, first 2 shown]
	s_waitcnt vmcnt(2)
	v_mul_f32_e32 v16, v53, v59
	v_mul_f32_e32 v17, v52, v59
	s_waitcnt vmcnt(0)
	v_mul_f32_e32 v18, v63, v61
	v_mul_f32_e32 v19, v62, v61
	v_fmac_f32_e32 v16, v52, v58
	v_fma_f32 v17, v53, v58, -v17
	v_fmac_f32_e32 v18, v62, v60
	v_fma_f32 v19, v63, v60, -v19
	ds_write2_b64 v68, v[0:1], v[2:3] offset0:2 offset1:245
	ds_write2_b64 v69, v[4:5], v[6:7] offset0:8 offset1:251
	;; [unrolled: 1-line block ×5, first 2 shown]
.LBB0_3:
	s_or_b32 exec_lo, exec_lo, s6
                                        ; kill: def $vgpr0 killed $sgpr0 killed $exec
	s_waitcnt lgkmcnt(0)
	s_barrier
	buffer_gl0_inv
                                        ; implicit-def: $vgpr14
                                        ; implicit-def: $vgpr26
                                        ; implicit-def: $vgpr22
                                        ; implicit-def: $vgpr30
                                        ; implicit-def: $vgpr18
                                        ; implicit-def: $vgpr6
                                        ; implicit-def: $vgpr2
                                        ; implicit-def: $vgpr10
	s_and_saveexec_b32 s1, vcc_lo
	s_cbranch_execz .LBB0_5
; %bb.4:
	v_add_nc_u32_e32 v0, 0xf00, v113
	v_add_nc_u32_e32 v12, 0x2d80, v113
	;; [unrolled: 1-line block ×7, first 2 shown]
	ds_read2_b64 v[8:11], v113 offset1:243
	ds_read2_b64 v[0:3], v0 offset0:6 offset1:249
	ds_read2_b64 v[4:7], v4 offset0:12 offset1:255
	;; [unrolled: 1-line block ×7, first 2 shown]
.LBB0_5:
	s_or_b32 exec_lo, exec_lo, s1
	s_waitcnt lgkmcnt(3)
	v_sub_f32_e32 v29, v9, v29
	s_waitcnt lgkmcnt(1)
	v_sub_f32_e32 v25, v5, v25
	v_sub_f32_e32 v20, v0, v20
	s_waitcnt lgkmcnt(0)
	v_sub_f32_e32 v12, v16, v12
	v_sub_f32_e32 v28, v8, v28
	;; [unrolled: 1-line block ×3, first 2 shown]
	v_fma_f32 v9, v9, 2.0, -v29
	v_sub_f32_e32 v21, v1, v21
	v_fma_f32 v5, v5, 2.0, -v25
	v_fma_f32 v32, v0, 2.0, -v20
	v_sub_f32_e32 v13, v17, v13
	v_fma_f32 v16, v16, 2.0, -v12
	v_sub_f32_e32 v30, v10, v30
	v_sub_f32_e32 v26, v6, v26
	;; [unrolled: 1-line block ×3, first 2 shown]
	v_fma_f32 v8, v8, 2.0, -v28
	v_fma_f32 v4, v4, 2.0, -v24
	;; [unrolled: 1-line block ×3, first 2 shown]
	v_sub_f32_e32 v34, v11, v31
	v_fma_f32 v17, v17, 2.0, -v13
	v_fma_f32 v35, v10, 2.0, -v30
	;; [unrolled: 1-line block ×3, first 2 shown]
	v_sub_f32_e32 v22, v2, v22
	v_fma_f32 v36, v7, 2.0, -v27
	v_sub_f32_e32 v23, v3, v23
	v_sub_f32_e32 v14, v18, v14
	;; [unrolled: 1-line block ×4, first 2 shown]
	v_add_f32_e32 v15, v24, v29
	v_sub_f32_e32 v16, v32, v16
	v_fma_f32 v11, v11, 2.0, -v34
	v_fma_f32 v38, v2, 2.0, -v22
	v_sub_f32_e32 v1, v8, v4
	v_fma_f32 v3, v3, 2.0, -v23
	v_fma_f32 v18, v18, 2.0, -v14
	;; [unrolled: 1-line block ×3, first 2 shown]
	v_sub_f32_e32 v10, v28, v25
	v_fma_f32 v2, v9, 2.0, -v7
	v_sub_f32_e32 v17, v33, v17
	v_fma_f32 v6, v29, 2.0, -v15
	v_fma_f32 v9, v32, 2.0, -v16
	v_sub_f32_e32 v25, v20, v13
	v_add_f32_e32 v29, v12, v21
	v_sub_f32_e32 v12, v35, v31
	v_sub_f32_e32 v31, v30, v27
	v_add_f32_e32 v32, v26, v34
	v_sub_f32_e32 v40, v22, v37
	v_add_f32_e32 v41, v14, v23
	s_clause 0x1
	s_load_dwordx2 s[6:7], s[4:5], 0x20
	s_load_dwordx2 s[2:3], s[4:5], 0x8
	v_fma_f32 v0, v8, 2.0, -v1
	v_fma_f32 v4, v28, 2.0, -v10
	;; [unrolled: 1-line block ×3, first 2 shown]
	v_sub_f32_e32 v24, v11, v36
	v_fma_f32 v20, v20, 2.0, -v25
	v_fma_f32 v21, v21, 2.0, -v29
	;; [unrolled: 1-line block ×3, first 2 shown]
	v_sub_f32_e32 v18, v38, v18
	v_sub_f32_e32 v19, v3, v19
	v_fma_f32 v26, v34, 2.0, -v32
	v_fma_f32 v22, v22, 2.0, -v40
	;; [unrolled: 1-line block ×3, first 2 shown]
	v_fmamk_f32 v37, v25, 0x3f3504f3, v10
	v_fma_f32 v8, v11, 2.0, -v24
	v_fma_f32 v14, v38, 2.0, -v18
	;; [unrolled: 1-line block ×3, first 2 shown]
	v_fmamk_f32 v27, v20, 0xbf3504f3, v4
	v_fmamk_f32 v30, v21, 0xbf3504f3, v6
	v_sub_f32_e32 v3, v0, v9
	v_sub_f32_e32 v9, v2, v28
	v_fmamk_f32 v39, v29, 0x3f3504f3, v15
	v_fmac_f32_e32 v37, 0xbf3504f3, v29
	v_fmamk_f32 v28, v22, 0xbf3504f3, v13
	v_fmamk_f32 v29, v23, 0xbf3504f3, v26
	;; [unrolled: 1-line block ×4, first 2 shown]
	v_fma_f32 v5, v35, 2.0, -v12
	v_fmac_f32_e32 v27, 0xbf3504f3, v21
	v_fmac_f32_e32 v30, 0x3f3504f3, v20
	v_sub_f32_e32 v11, v1, v17
	v_add_f32_e32 v35, v16, v7
	v_fmac_f32_e32 v39, 0x3f3504f3, v25
	v_sub_f32_e32 v25, v8, v33
	v_fmac_f32_e32 v28, 0xbf3504f3, v23
	v_fmac_f32_e32 v29, 0x3f3504f3, v22
	v_sub_f32_e32 v33, v12, v19
	v_add_f32_e32 v34, v18, v24
	v_fmac_f32_e32 v36, 0xbf3504f3, v41
	v_fmac_f32_e32 v38, 0x3f3504f3, v40
	v_sub_f32_e32 v14, v5, v14
	v_fmamk_f32 v18, v28, 0x3ec3ef15, v27
	v_fmamk_f32 v19, v29, 0x3ec3ef15, v30
	;; [unrolled: 1-line block ×6, first 2 shown]
	v_lshlrev_b32_e32 v116, 4, v114
                                        ; kill: def $vgpr16_vgpr17 killed $sgpr0_sgpr1 killed $exec
	s_waitcnt lgkmcnt(0)
	s_barrier
	buffer_gl0_inv
	s_and_saveexec_b32 s1, s0
	s_xor_b32 s0, exec_lo, s1
                                        ; implicit-def: $vgpr55_vgpr56
; %bb.6:
	v_mov_b32_e32 v56, 0
                                        ; implicit-def: $vgpr1
                                        ; implicit-def: $vgpr7
                                        ; implicit-def: $vgpr0
                                        ; implicit-def: $vgpr2
                                        ; implicit-def: $vgpr10
                                        ; implicit-def: $vgpr15
                                        ; implicit-def: $vgpr4
                                        ; implicit-def: $vgpr6
                                        ; implicit-def: $vgpr12
                                        ; implicit-def: $vgpr24
                                        ; implicit-def: $vgpr5
                                        ; implicit-def: $vgpr8
                                        ; implicit-def: $vgpr31
                                        ; implicit-def: $vgpr32
                                        ; implicit-def: $vgpr13
                                        ; implicit-def: $vgpr26
                                        ; implicit-def: $vgpr27
                                        ; implicit-def: $vgpr30
                                        ; implicit-def: $vgpr11
                                        ; implicit-def: $vgpr35
                                        ; implicit-def: $vgpr37
                                        ; implicit-def: $vgpr39
; %bb.7:
	s_or_saveexec_b32 s0, s0
	v_sub_f32_e32 v16, v3, v25
	v_add_f32_e32 v17, v14, v9
	v_fmac_f32_e32 v18, 0xbf6c835e, v29
	v_fmac_f32_e32 v19, 0x3f6c835e, v28
	;; [unrolled: 1-line block ×6, first 2 shown]
	s_xor_b32 exec_lo, exec_lo, s0
	s_cbranch_execz .LBB0_9
; %bb.8:
	v_fma_f32 v15, v15, 2.0, -v39
	v_fma_f32 v40, v32, 2.0, -v38
	;; [unrolled: 1-line block ×6, first 2 shown]
	v_fmamk_f32 v32, v40, 0xbec3ef15, v15
	v_fma_f32 v12, v12, 2.0, -v33
	v_fmamk_f32 v42, v31, 0xbec3ef15, v10
	v_fma_f32 v33, v27, 2.0, -v18
	v_fma_f32 v26, v26, 2.0, -v29
	v_fmamk_f32 v43, v31, 0x3f6c835e, v32
	v_fmamk_f32 v31, v24, 0xbf3504f3, v7
	v_fma_f32 v13, v13, 2.0, -v28
	v_fma_f32 v27, v4, 2.0, -v27
	;; [unrolled: 1-line block ×6, first 2 shown]
	v_fmamk_f32 v41, v12, 0x3f3504f3, v31
	v_fmamk_f32 v6, v13, 0xbf6c835e, v27
	v_fma_f32 v2, v2, 2.0, -v9
	v_fmamk_f32 v4, v26, 0xbf6c835e, v15
	v_fma_f32 v8, v8, 2.0, -v25
	v_fma_f32 v0, v0, 2.0, -v3
	;; [unrolled: 1-line block ×3, first 2 shown]
	v_fmac_f32_e32 v42, 0xbf6c835e, v40
	v_fmamk_f32 v40, v12, 0xbf3504f3, v1
	v_fma_f32 v45, v7, 2.0, -v41
	v_fmamk_f32 v7, v13, 0x3ec3ef15, v4
	v_fmac_f32_e32 v6, 0xbec3ef15, v26
	v_sub_f32_e32 v5, v2, v8
	v_sub_f32_e32 v4, v0, v9
	v_fmac_f32_e32 v40, 0xbf3504f3, v24
	v_fma_f32 v15, v15, 2.0, -v7
	v_fma_f32 v14, v27, 2.0, -v6
	;; [unrolled: 1-line block ×4, first 2 shown]
	v_lshlrev_b32_e32 v0, 7, v114
	v_mov_b32_e32 v56, 0
	v_fma_f32 v46, v10, 2.0, -v42
	v_fma_f32 v44, v1, 2.0, -v40
	;; [unrolled: 1-line block ×8, first 2 shown]
	ds_write_b128 v0, v[12:15]
	ds_write_b128 v0, v[44:47] offset:16
	ds_write_b128 v0, v[31:34] offset:32
	;; [unrolled: 1-line block ×7, first 2 shown]
.LBB0_9:
	s_or_b32 exec_lo, exec_lo, s0
	v_add_co_u32 v75, s0, 0x144, v114
	v_and_b32_e32 v40, 15, v114
	v_add_co_u32 v73, null, 0x288, v114
	v_and_b32_e32 v44, 15, v75
	v_add_co_u32 v72, null, 0x3cc, v114
	v_lshlrev_b32_e32 v0, 4, v40
	v_and_b32_e32 v45, 15, v73
	v_lshlrev_b32_e32 v4, 4, v44
	v_and_b32_e32 v46, 15, v72
	s_load_dwordx4 s[4:7], s[6:7], 0x0
	s_waitcnt lgkmcnt(0)
	s_barrier
	buffer_gl0_inv
	s_clause 0x1
	global_load_dwordx4 v[0:3], v0, s[2:3]
	global_load_dwordx4 v[12:15], v4, s[2:3]
	v_lshlrev_b32_e32 v5, 4, v45
	v_lshlrev_b32_e32 v4, 4, v46
	s_clause 0x1
	global_load_dwordx4 v[8:11], v5, s[2:3]
	global_load_dwordx4 v[4:7], v4, s[2:3]
	v_mov_b32_e32 v74, 3
	v_lshrrev_b32_e32 v24, 4, v114
	v_mov_b32_e32 v25, 0xaaab
	v_lshrrev_b32_e32 v43, 4, v73
	v_lshrrev_b32_e32 v42, 4, v75
	v_lshlrev_b32_sdwa v115, v74, v114 dst_sel:DWORD dst_unused:UNUSED_PAD src0_sel:DWORD src1_sel:WORD_0
	v_mul_u32_u24_e32 v41, 48, v24
	v_mul_u32_u24_sdwa v58, v114, v25 dst_sel:DWORD dst_unused:UNUSED_PAD src0_sel:WORD_0 src1_sel:DWORD
	v_mul_u32_u24_sdwa v59, v75, v25 dst_sel:DWORD dst_unused:UNUSED_PAD src0_sel:WORD_0 src1_sel:DWORD
	;; [unrolled: 1-line block ×4, first 2 shown]
	ds_read_b64 v[24:25], v115
	ds_read_b64 v[26:27], v115 offset:2592
	ds_read_b64 v[28:29], v115 offset:5184
	;; [unrolled: 1-line block ×11, first 2 shown]
	v_mul_u32_u24_e32 v64, 48, v43
	v_lshrrev_b32_e32 v47, 4, v72
	v_or_b32_e32 v62, v41, v40
	v_mul_u32_u24_e32 v63, 48, v42
	v_lshrrev_b32_e32 v40, 21, v58
	v_lshrrev_b32_e32 v41, 21, v59
	v_or_b32_e32 v59, v64, v45
	v_mul_u32_u24_e32 v47, 48, v47
	v_lshrrev_b32_e32 v42, 21, v60
	v_or_b32_e32 v58, v63, v44
	v_mul_lo_u16 v44, v40, 48
	v_lshrrev_b32_e32 v43, 21, v61
	v_mul_lo_u16 v45, v41, 48
	v_or_b32_e32 v60, v47, v46
	v_mul_lo_u16 v46, v42, 48
	v_sub_nc_u16 v44, v114, v44
	v_mul_lo_u16 v47, v43, 48
	v_sub_nc_u16 v45, v75, v45
	v_lshlrev_b32_e32 v120, 3, v58
	v_sub_nc_u16 v46, v73, v46
	v_lshlrev_b16 v58, 4, v44
	v_sub_nc_u16 v47, v72, v47
	v_lshlrev_b32_e32 v118, 3, v59
	v_lshlrev_b16 v59, 4, v45
	v_lshlrev_b16 v61, 4, v46
	v_and_b32_e32 v58, 0xffff, v58
	v_lshlrev_b32_e32 v119, 3, v62
	v_lshlrev_b16 v62, 4, v47
	v_lshlrev_b32_e32 v117, 3, v60
	v_and_b32_e32 v60, 0xffff, v59
	v_and_b32_e32 v63, 0xffff, v61
	v_add_co_ci_u32_e64 v57, null, 0, 0, s0
	v_add_co_u32 v58, s0, s2, v58
	v_and_b32_e32 v62, 0xffff, v62
	v_add_co_ci_u32_e64 v59, null, s3, 0, s0
	v_add_co_u32 v60, s0, s2, v60
	s_waitcnt vmcnt(0) lgkmcnt(0)
	s_barrier
	buffer_gl0_inv
	v_add_co_ci_u32_e64 v61, null, s3, 0, s0
	v_mad_u16 v40, 0x90, v40, v44
	v_mad_u16 v41, 0x90, v41, v45
	;; [unrolled: 1-line block ×4, first 2 shown]
	v_lshlrev_b32_sdwa v124, v74, v40 dst_sel:DWORD dst_unused:UNUSED_PAD src0_sel:DWORD src1_sel:WORD_0
	v_lshlrev_b32_sdwa v123, v74, v41 dst_sel:DWORD dst_unused:UNUSED_PAD src0_sel:DWORD src1_sel:WORD_0
	;; [unrolled: 1-line block ×4, first 2 shown]
	v_mul_f32_e32 v64, v33, v1
	v_mul_f32_e32 v65, v32, v1
	;; [unrolled: 1-line block ×4, first 2 shown]
	v_fma_f32 v32, v32, v0, -v64
	v_fmac_f32_e32 v65, v33, v0
	v_fma_f32 v33, v48, v2, -v66
	v_fmac_f32_e32 v67, v49, v2
	v_mul_f32_e32 v48, v35, v13
	v_mul_f32_e32 v49, v34, v13
	;; [unrolled: 1-line block ×12, first 2 shown]
	v_fma_f32 v34, v34, v12, -v48
	v_fmac_f32_e32 v49, v35, v12
	v_fma_f32 v35, v50, v14, -v64
	v_fmac_f32_e32 v66, v51, v14
	v_fmac_f32_e32 v69, v37, v8
	v_fma_f32 v48, v52, v10, -v70
	v_fmac_f32_e32 v71, v53, v10
	v_fma_f32 v37, v38, v4, -v76
	v_fmac_f32_e32 v77, v39, v4
	v_add_f32_e32 v38, v24, v32
	v_add_f32_e32 v39, v32, v33
	;; [unrolled: 1-line block ×4, first 2 shown]
	v_fma_f32 v36, v36, v8, -v68
	v_fma_f32 v50, v54, v6, -v78
	v_fmac_f32_e32 v79, v55, v6
	v_sub_f32_e32 v54, v32, v33
	v_add_f32_e32 v32, v38, v33
	v_fma_f32 v24, -0.5, v39, v24
	v_add_f32_e32 v33, v52, v67
	v_fmac_f32_e32 v25, -0.5, v53
	v_add_f32_e32 v39, v34, v35
	v_sub_f32_e32 v52, v49, v66
	v_add_f32_e32 v53, v27, v49
	v_add_f32_e32 v49, v49, v66
	v_sub_f32_e32 v51, v65, v67
	v_add_f32_e32 v65, v36, v48
	v_sub_f32_e32 v67, v69, v71
	v_add_f32_e32 v68, v29, v69
	v_add_f32_e32 v69, v69, v71
	v_add_f32_e32 v78, v37, v50
	v_sub_f32_e32 v80, v77, v79
	v_add_f32_e32 v81, v31, v77
	v_add_f32_e32 v77, v77, v79
	;; [unrolled: 4-line block ×3, first 2 shown]
	v_fma_f32 v26, -0.5, v39, v26
	v_fmac_f32_e32 v27, -0.5, v49
	v_sub_f32_e32 v70, v36, v48
	v_fma_f32 v28, -0.5, v65, v28
	v_fmac_f32_e32 v29, -0.5, v69
	v_sub_f32_e32 v82, v37, v50
	v_fmamk_f32 v36, v51, 0x3f5db3d7, v24
	v_fmamk_f32 v37, v54, 0xbf5db3d7, v25
	v_fma_f32 v30, -0.5, v78, v30
	v_fmac_f32_e32 v31, -0.5, v77
	v_fmac_f32_e32 v24, 0xbf5db3d7, v51
	v_fmac_f32_e32 v25, 0x3f5db3d7, v54
	v_add_f32_e32 v34, v38, v35
	v_add_f32_e32 v35, v53, v66
	;; [unrolled: 1-line block ×4, first 2 shown]
	v_fmamk_f32 v50, v52, 0x3f5db3d7, v26
	v_fmamk_f32 v51, v55, 0xbf5db3d7, v27
	v_fmac_f32_e32 v26, 0xbf5db3d7, v52
	v_fmac_f32_e32 v27, 0x3f5db3d7, v55
	v_add_f32_e32 v39, v68, v71
	v_fmamk_f32 v52, v67, 0x3f5db3d7, v28
	v_fmamk_f32 v53, v70, 0xbf5db3d7, v29
	v_add_f32_e32 v49, v81, v79
	v_fmac_f32_e32 v28, 0xbf5db3d7, v67
	v_fmac_f32_e32 v29, 0x3f5db3d7, v70
	v_fmamk_f32 v54, v80, 0x3f5db3d7, v30
	v_fmac_f32_e32 v30, 0xbf5db3d7, v80
	v_fmamk_f32 v55, v82, 0xbf5db3d7, v31
	v_fmac_f32_e32 v31, 0x3f5db3d7, v82
	ds_write2_b64 v119, v[32:33], v[36:37] offset1:16
	ds_write_b64 v119, v[24:25] offset:256
	ds_write2_b64 v120, v[34:35], v[50:51] offset1:16
	ds_write_b64 v120, v[26:27] offset:256
	;; [unrolled: 2-line block ×4, first 2 shown]
	v_add_co_u32 v24, s0, s2, v63
	v_add_co_ci_u32_e64 v25, null, s3, 0, s0
	v_add_co_u32 v26, s0, s2, v62
	s_waitcnt lgkmcnt(0)
	s_barrier
	buffer_gl0_inv
	s_clause 0x1
	global_load_dwordx4 v[36:39], v[58:59], off offset:256
	global_load_dwordx4 v[32:35], v[60:61], off offset:256
	v_add_co_ci_u32_e64 v27, null, s3, 0, s0
	s_clause 0x1
	global_load_dwordx4 v[28:31], v[24:25], off offset:256
	global_load_dwordx4 v[24:27], v[26:27], off offset:256
	v_mov_b32_e32 v48, 0xe38f
	ds_read_b64 v[40:41], v115 offset:10368
	v_mul_u32_u24_sdwa v49, v114, v48 dst_sel:DWORD dst_unused:UNUSED_PAD src0_sel:WORD_0 src1_sel:DWORD
	v_mul_u32_u24_sdwa v50, v75, v48 dst_sel:DWORD dst_unused:UNUSED_PAD src0_sel:WORD_0 src1_sel:DWORD
	;; [unrolled: 1-line block ×4, first 2 shown]
	v_lshrrev_b32_e32 v61, 23, v49
	v_lshrrev_b32_e32 v60, 23, v50
	;; [unrolled: 1-line block ×4, first 2 shown]
	v_mul_lo_u16 v48, 0x90, v61
	v_mul_lo_u16 v49, 0x90, v60
	v_mul_lo_u16 v50, 0x90, v58
	v_mul_lo_u16 v51, 0x90, v59
	v_sub_nc_u16 v65, v114, v48
	v_sub_nc_u16 v64, v75, v49
	;; [unrolled: 1-line block ×4, first 2 shown]
	v_lshlrev_b16 v44, 4, v65
	v_lshlrev_b16 v45, 4, v64
	;; [unrolled: 1-line block ×4, first 2 shown]
	v_mad_u16 v61, 0x1b0, v61, v65
	v_and_b32_e32 v42, 0xffff, v44
	v_and_b32_e32 v52, 0xffff, v45
	;; [unrolled: 1-line block ×4, first 2 shown]
	ds_read_b64 v[44:45], v115 offset:20736
	ds_read_b64 v[46:47], v115 offset:23328
	;; [unrolled: 1-line block ×4, first 2 shown]
	v_add_co_u32 v42, s0, s2, v42
	v_add_co_ci_u32_e64 v43, null, s3, 0, s0
	v_add_co_u32 v66, s0, s2, v52
	ds_read_b64 v[52:53], v115 offset:25920
	ds_read_b64 v[54:55], v115 offset:18144
	;; [unrolled: 1-line block ×3, first 2 shown]
	ds_read_b64 v[70:71], v115
	ds_read_b64 v[76:77], v115 offset:2592
	ds_read_b64 v[78:79], v115 offset:5184
	;; [unrolled: 1-line block ×3, first 2 shown]
	v_add_co_ci_u32_e64 v67, null, s3, 0, s0
	s_waitcnt vmcnt(0) lgkmcnt(0)
	s_barrier
	buffer_gl0_inv
	v_mad_u16 v60, 0x1b0, v60, v64
	v_mad_u16 v58, 0x1b0, v58, v62
	;; [unrolled: 1-line block ×3, first 2 shown]
	v_lshlrev_b32_sdwa v128, v74, v61 dst_sel:DWORD dst_unused:UNUSED_PAD src0_sel:DWORD src1_sel:WORD_0
	v_lshlrev_b32_sdwa v127, v74, v60 dst_sel:DWORD dst_unused:UNUSED_PAD src0_sel:DWORD src1_sel:WORD_0
	;; [unrolled: 1-line block ×4, first 2 shown]
	v_mul_f32_e32 v84, v41, v37
	v_mul_f32_e32 v85, v40, v37
	;; [unrolled: 1-line block ×16, first 2 shown]
	v_fma_f32 v40, v40, v36, -v84
	v_fmac_f32_e32 v85, v41, v36
	v_fma_f32 v41, v44, v38, -v86
	v_fmac_f32_e32 v87, v45, v38
	;; [unrolled: 2-line block ×8, first 2 shown]
	v_add_f32_e32 v49, v40, v41
	v_add_f32_e32 v52, v85, v87
	;; [unrolled: 1-line block ×3, first 2 shown]
	v_sub_f32_e32 v54, v85, v87
	v_add_f32_e32 v85, v89, v91
	v_add_f32_e32 v88, v44, v46
	;; [unrolled: 1-line block ×5, first 2 shown]
	v_sub_f32_e32 v55, v40, v41
	v_add_f32_e32 v69, v76, v44
	v_add_f32_e32 v86, v79, v93
	v_sub_f32_e32 v90, v93, v95
	v_add_f32_e32 v93, v78, v45
	v_add_f32_e32 v98, v81, v97
	;; [unrolled: 3-line block ×3, first 2 shown]
	v_add_f32_e32 v102, v47, v50
	v_fma_f32 v70, -0.5, v49, v70
	v_fmac_f32_e32 v71, -0.5, v52
	v_add_f32_e32 v68, v77, v89
	v_sub_f32_e32 v84, v89, v91
	v_sub_f32_e32 v89, v44, v46
	v_fma_f32 v76, -0.5, v88, v76
	v_fmac_f32_e32 v77, -0.5, v85
	v_sub_f32_e32 v96, v45, v48
	v_fma_f32 v78, -0.5, v94, v78
	v_fmac_f32_e32 v79, -0.5, v92
	v_sub_f32_e32 v103, v47, v50
	v_add_f32_e32 v40, v51, v41
	v_add_f32_e32 v41, v53, v87
	v_add_f32_e32 v44, v69, v46
	v_add_f32_e32 v46, v93, v48
	v_add_f32_e32 v48, v101, v50
	v_fma_f32 v80, -0.5, v102, v80
	v_fmac_f32_e32 v81, -0.5, v97
	v_fmamk_f32 v50, v54, 0x3f5db3d7, v70
	v_fmamk_f32 v51, v55, 0xbf5db3d7, v71
	v_fmac_f32_e32 v70, 0xbf5db3d7, v54
	v_fmac_f32_e32 v71, 0x3f5db3d7, v55
	v_add_f32_e32 v45, v68, v91
	v_fmamk_f32 v52, v84, 0x3f5db3d7, v76
	v_fmamk_f32 v53, v89, 0xbf5db3d7, v77
	v_fmac_f32_e32 v76, 0xbf5db3d7, v84
	v_fmac_f32_e32 v77, 0x3f5db3d7, v89
	v_add_f32_e32 v47, v86, v95
	v_fmamk_f32 v54, v90, 0x3f5db3d7, v78
	v_fmamk_f32 v55, v96, 0xbf5db3d7, v79
	v_add_f32_e32 v49, v98, v99
	v_fmac_f32_e32 v78, 0xbf5db3d7, v90
	v_fmac_f32_e32 v79, 0x3f5db3d7, v96
	v_fmamk_f32 v68, v100, 0x3f5db3d7, v80
	v_fmac_f32_e32 v80, 0xbf5db3d7, v100
	v_fmamk_f32 v69, v103, 0xbf5db3d7, v81
	v_fmac_f32_e32 v81, 0x3f5db3d7, v103
	ds_write2_b64 v124, v[40:41], v[50:51] offset1:48
	ds_write_b64 v124, v[70:71] offset:768
	ds_write2_b64 v123, v[44:45], v[52:53] offset1:48
	ds_write_b64 v123, v[76:77] offset:768
	;; [unrolled: 2-line block ×4, first 2 shown]
	v_add_co_u32 v40, s0, s2, v82
	s_waitcnt lgkmcnt(0)
	s_barrier
	buffer_gl0_inv
	s_clause 0x1
	global_load_dwordx4 v[52:55], v[42:43], off offset:1024
	global_load_dwordx4 v[48:51], v[66:67], off offset:1024
	v_add_co_ci_u32_e64 v41, null, s3, 0, s0
	v_add_co_u32 v42, s0, s2, v83
	v_add_co_ci_u32_e64 v43, null, s3, 0, s0
	s_clause 0x1
	global_load_dwordx4 v[44:47], v[40:41], off offset:1024
	global_load_dwordx4 v[40:43], v[42:43], off offset:1024
	v_add_co_u32 v66, s0, 0xffffff94, v114
	v_add_co_ci_u32_e64 v67, null, 0, -1, s0
	v_cmp_gt_u16_e64 s0, 0x6c, v114
	v_mov_b32_e32 v68, 0x12f7
	ds_read_b64 v[58:59], v115 offset:10368
	v_cndmask_b32_e64 v76, v66, v75, s0
	v_lshrrev_b16 v66, 4, v73
	v_cndmask_b32_e64 v77, v67, v57, s0
	v_lshrrev_b16 v67, 4, v72
	v_add_co_u32 v89, s0, s2, v116
	v_mul_u32_u24_sdwa v69, v66, v68 dst_sel:DWORD dst_unused:UNUSED_PAD src0_sel:WORD_0 src1_sel:DWORD
	v_add_co_ci_u32_e64 v90, s0, s3, v56, s0
	v_mul_u32_u24_sdwa v68, v67, v68 dst_sel:DWORD dst_unused:UNUSED_PAD src0_sel:WORD_0 src1_sel:DWORD
	v_lshlrev_b64 v[56:57], 4, v[76:77]
	v_lshrrev_b32_e32 v91, 17, v69
	v_add_co_u32 v66, s0, 0x800, v89
	v_lshrrev_b32_e32 v68, 17, v68
	v_add_co_ci_u32_e64 v67, s0, 0, v90, s0
	v_mul_lo_u16 v69, 0x1b0, v91
	v_add_co_u32 v56, s0, s2, v56
	v_mul_lo_u16 v68, 0x1b0, v68
	v_add_co_ci_u32_e64 v57, s0, s3, v57, s0
	v_sub_nc_u16 v92, v73, v69
	v_add_co_u32 v56, s0, 0x800, v56
	v_sub_nc_u16 v93, v72, v68
	v_add_co_ci_u32_e64 v57, s0, 0, v57, s0
	v_lshlrev_b16 v62, 4, v92
	v_lshlrev_b32_e32 v75, 4, v75
	v_lshlrev_b16 v61, 4, v93
	v_lshlrev_b32_e32 v73, 4, v73
	v_lshlrev_b32_e32 v72, 4, v72
	v_and_b32_e32 v60, 0xffff, v62
	v_and_b32_e32 v70, 0xffff, v61
	v_add_co_u32 v94, s0, s2, v60
	ds_read_b64 v[60:61], v115 offset:20736
	ds_read_b64 v[62:63], v115 offset:12960
	;; [unrolled: 1-line block ×4, first 2 shown]
	v_add_co_ci_u32_e64 v95, null, s3, 0, s0
	v_add_co_u32 v96, s0, s2, v70
	ds_read_b64 v[70:71], v115 offset:25920
	ds_read_b64 v[77:78], v115 offset:18144
	;; [unrolled: 1-line block ×3, first 2 shown]
	ds_read_b64 v[81:82], v115
	ds_read_b64 v[83:84], v115 offset:2592
	ds_read_b64 v[85:86], v115 offset:5184
	;; [unrolled: 1-line block ×3, first 2 shown]
	v_add_co_ci_u32_e64 v97, null, s3, 0, s0
	s_waitcnt vmcnt(0) lgkmcnt(0)
	s_barrier
	buffer_gl0_inv
	v_mul_f32_e32 v98, v59, v53
	v_mul_f32_e32 v99, v58, v53
	;; [unrolled: 1-line block ×8, first 2 shown]
	v_fma_f32 v58, v58, v52, -v98
	v_mul_f32_e32 v106, v65, v45
	v_mul_f32_e32 v107, v64, v45
	;; [unrolled: 1-line block ×8, first 2 shown]
	v_fmac_f32_e32 v99, v59, v52
	v_fma_f32 v60, v60, v54, -v100
	v_fmac_f32_e32 v101, v61, v54
	v_fma_f32 v59, v62, v48, -v102
	v_fmac_f32_e32 v103, v63, v48
	v_fma_f32 v62, v68, v50, -v104
	v_fmac_f32_e32 v105, v69, v50
	v_fma_f32 v61, v64, v44, -v106
	v_fmac_f32_e32 v107, v65, v44
	v_fma_f32 v64, v70, v46, -v108
	v_fmac_f32_e32 v109, v71, v46
	v_fma_f32 v63, v77, v40, -v110
	v_fmac_f32_e32 v111, v78, v40
	v_fma_f32 v68, v79, v42, -v129
	v_fmac_f32_e32 v130, v80, v42
	v_add_f32_e32 v69, v99, v101
	v_add_f32_e32 v77, v58, v60
	v_add_f32_e32 v98, v103, v105
	v_add_f32_e32 v100, v59, v62
	v_add_f32_e32 v106, v107, v109
	v_add_f32_e32 v108, v61, v64
	v_add_f32_e32 v65, v82, v99
	v_sub_f32_e32 v70, v99, v101
	v_add_f32_e32 v71, v81, v58
	v_sub_f32_e32 v78, v58, v60
	v_add_f32_e32 v79, v84, v103
	v_sub_f32_e32 v80, v103, v105
	v_add_f32_e32 v99, v83, v59
	v_add_f32_e32 v103, v86, v107
	v_sub_f32_e32 v104, v107, v109
	v_add_f32_e32 v107, v85, v61
	v_add_f32_e32 v129, v88, v111
	v_sub_f32_e32 v131, v111, v130
	v_add_f32_e32 v111, v111, v130
	v_add_f32_e32 v132, v87, v63
	;; [unrolled: 1-line block ×3, first 2 shown]
	v_fma_f32 v81, -0.5, v77, v81
	v_fmac_f32_e32 v82, -0.5, v69
	v_sub_f32_e32 v102, v59, v62
	v_fma_f32 v83, -0.5, v100, v83
	v_fmac_f32_e32 v84, -0.5, v98
	v_sub_f32_e32 v110, v61, v64
	;; [unrolled: 3-line block ×3, first 2 shown]
	v_add_f32_e32 v59, v65, v101
	v_add_f32_e32 v58, v71, v60
	;; [unrolled: 1-line block ×5, first 2 shown]
	v_fma_f32 v87, -0.5, v133, v87
	v_fmac_f32_e32 v88, -0.5, v111
	v_fmamk_f32 v68, v70, 0x3f5db3d7, v81
	v_fmamk_f32 v69, v78, 0xbf5db3d7, v82
	v_fmac_f32_e32 v81, 0xbf5db3d7, v70
	v_fmac_f32_e32 v82, 0x3f5db3d7, v78
	v_add_f32_e32 v61, v79, v105
	v_fmamk_f32 v70, v80, 0x3f5db3d7, v83
	v_fmamk_f32 v71, v102, 0xbf5db3d7, v84
	v_fmac_f32_e32 v83, 0xbf5db3d7, v80
	v_fmac_f32_e32 v84, 0x3f5db3d7, v102
	v_add_f32_e32 v63, v103, v109
	v_fmamk_f32 v77, v104, 0x3f5db3d7, v85
	v_fmamk_f32 v78, v110, 0xbf5db3d7, v86
	v_add_f32_e32 v65, v129, v130
	v_fmac_f32_e32 v85, 0xbf5db3d7, v104
	v_fmac_f32_e32 v86, 0x3f5db3d7, v110
	v_fmamk_f32 v79, v131, 0x3f5db3d7, v87
	v_fmamk_f32 v80, v134, 0xbf5db3d7, v88
	v_fmac_f32_e32 v87, 0xbf5db3d7, v131
	v_fmac_f32_e32 v88, 0x3f5db3d7, v134
	ds_write2_b64 v128, v[58:59], v[68:69] offset1:144
	ds_write_b64 v128, v[81:82] offset:2304
	ds_write2_b64 v127, v[60:61], v[70:71] offset1:144
	ds_write_b64 v127, v[83:84] offset:2304
	;; [unrolled: 2-line block ×4, first 2 shown]
	v_add_co_u32 v58, s0, 0x800, v94
	v_add_co_ci_u32_e64 v59, s0, 0, v95, s0
	s_waitcnt lgkmcnt(0)
	s_barrier
	buffer_gl0_inv
	s_clause 0x1
	global_load_dwordx4 v[68:71], v[66:67], off offset:1280
	global_load_dwordx4 v[64:67], v[56:57], off offset:1280
	v_add_co_u32 v56, s0, 0x800, v96
	v_add_co_ci_u32_e64 v57, s0, 0, v97, s0
	s_clause 0x1
	global_load_dwordx4 v[60:63], v[58:59], off offset:1280
	global_load_dwordx4 v[56:59], v[56:57], off offset:1280
	v_cmp_lt_u16_e64 s0, 0x6b, v114
	v_mad_u16 v87, 0x510, v91, v92
	v_lshlrev_b32_sdwa v129, v74, v93 dst_sel:DWORD dst_unused:UNUSED_PAD src0_sel:DWORD src1_sel:WORD_0
	v_cndmask_b32_e64 v79, 0, 0x510, s0
	v_add_co_u32 v77, s0, 0x2800, v89
	v_add_co_ci_u32_e64 v78, s0, 0, v90, s0
	v_add_co_u32 v81, s0, s2, v75
	v_add_co_ci_u32_e64 v82, null, s3, 0, s0
	v_add_co_u32 v101, s0, s2, v73
	v_add_lshl_u32 v130, v76, v79, 3
	v_add_co_ci_u32_e64 v102, null, s3, 0, s0
	v_add_co_u32 v103, s0, s2, v72
	ds_read_b64 v[72:73], v115 offset:10368
	ds_read_b64 v[75:76], v115 offset:12960
	;; [unrolled: 1-line block ×5, first 2 shown]
	v_lshlrev_b32_sdwa v131, v74, v87 dst_sel:DWORD dst_unused:UNUSED_PAD src0_sel:DWORD src1_sel:WORD_0
	ds_read_b64 v[87:88], v115 offset:25920
	ds_read_b64 v[89:90], v115 offset:18144
	ds_read_b64 v[91:92], v115 offset:28512
	ds_read_b64 v[93:94], v115
	ds_read_b64 v[95:96], v115 offset:2592
	ds_read_b64 v[97:98], v115 offset:5184
	;; [unrolled: 1-line block ×3, first 2 shown]
	s_waitcnt vmcnt(0) lgkmcnt(0)
	s_barrier
	buffer_gl0_inv
	v_add_co_ci_u32_e64 v104, null, s3, 0, s0
	v_add_co_u32 v81, s0, 0x2800, v81
	v_add_co_ci_u32_e64 v82, s0, 0, v82, s0
	v_mul_f32_e32 v74, v73, v69
	v_mul_f32_e32 v105, v72, v69
	v_mul_f32_e32 v106, v80, v71
	v_mul_f32_e32 v107, v79, v71
	v_mul_f32_e32 v108, v76, v65
	v_mul_f32_e32 v109, v75, v65
	v_mul_f32_e32 v110, v84, v67
	v_mul_f32_e32 v111, v83, v67
	v_mul_f32_e32 v132, v86, v61
	v_mul_f32_e32 v133, v85, v61
	v_mul_f32_e32 v134, v88, v63
	v_mul_f32_e32 v135, v87, v63
	v_mul_f32_e32 v136, v90, v57
	v_mul_f32_e32 v137, v89, v57
	v_mul_f32_e32 v138, v92, v59
	v_mul_f32_e32 v139, v91, v59
	v_fma_f32 v72, v72, v68, -v74
	v_fmac_f32_e32 v105, v73, v68
	v_fma_f32 v73, v79, v70, -v106
	v_fmac_f32_e32 v107, v80, v70
	;; [unrolled: 2-line block ×8, first 2 shown]
	v_add_f32_e32 v84, v93, v72
	v_add_f32_e32 v85, v94, v105
	;; [unrolled: 1-line block ×4, first 2 shown]
	v_sub_f32_e32 v86, v105, v107
	v_add_f32_e32 v105, v109, v111
	v_add_f32_e32 v106, v74, v75
	v_sub_f32_e32 v89, v72, v73
	v_add_f32_e32 v110, v98, v133
	v_sub_f32_e32 v132, v133, v135
	v_add_f32_e32 v133, v133, v135
	v_add_f32_e32 v134, v76, v79
	;; [unrolled: 1-line block ×3, first 2 shown]
	v_sub_f32_e32 v140, v137, v139
	v_add_f32_e32 v137, v137, v139
	v_add_f32_e32 v141, v80, v83
	;; [unrolled: 1-line block ×4, first 2 shown]
	v_fma_f32 v93, -0.5, v88, v93
	v_fmac_f32_e32 v94, -0.5, v87
	v_add_f32_e32 v90, v95, v74
	v_add_f32_e32 v91, v96, v109
	v_sub_f32_e32 v92, v109, v111
	v_sub_f32_e32 v108, v74, v75
	v_fma_f32 v95, -0.5, v106, v95
	v_fmac_f32_e32 v96, -0.5, v105
	v_add_f32_e32 v109, v97, v76
	v_sub_f32_e32 v76, v76, v79
	v_add_f32_e32 v136, v99, v80
	v_sub_f32_e32 v142, v80, v83
	v_fma_f32 v97, -0.5, v134, v97
	v_fmac_f32_e32 v98, -0.5, v133
	v_fma_f32 v99, -0.5, v141, v99
	v_fmac_f32_e32 v100, -0.5, v137
	ds_write_b64 v115, v[72:73]
	v_fmamk_f32 v72, v86, 0x3f5db3d7, v93
	v_fmamk_f32 v73, v89, 0xbf5db3d7, v94
	v_fmac_f32_e32 v93, 0xbf5db3d7, v86
	v_fmac_f32_e32 v94, 0x3f5db3d7, v89
	v_add_f32_e32 v74, v90, v75
	v_add_f32_e32 v75, v91, v111
	v_fmamk_f32 v85, v92, 0x3f5db3d7, v95
	v_fmamk_f32 v86, v108, 0xbf5db3d7, v96
	v_fmac_f32_e32 v95, 0xbf5db3d7, v92
	v_fmac_f32_e32 v96, 0x3f5db3d7, v108
	v_add_f32_e32 v79, v109, v79
	v_add_f32_e32 v80, v110, v135
	;; [unrolled: 1-line block ×4, first 2 shown]
	v_fmamk_f32 v87, v132, 0x3f5db3d7, v97
	v_fmamk_f32 v88, v76, 0xbf5db3d7, v98
	v_fmac_f32_e32 v97, 0xbf5db3d7, v132
	v_fmac_f32_e32 v98, 0x3f5db3d7, v76
	v_fmamk_f32 v89, v140, 0x3f5db3d7, v99
	v_fmamk_f32 v90, v142, 0xbf5db3d7, v100
	v_fmac_f32_e32 v99, 0xbf5db3d7, v140
	v_fmac_f32_e32 v100, 0x3f5db3d7, v142
	ds_write_b64 v115, v[72:73] offset:3456
	ds_write_b64 v115, v[93:94] offset:6912
	ds_write_b64 v130, v[74:75]
	ds_write_b64 v130, v[85:86] offset:3456
	ds_write_b64 v130, v[95:96] offset:6912
	ds_write_b64 v131, v[79:80]
	ds_write_b64 v131, v[87:88] offset:3456
	ds_write_b64 v131, v[97:98] offset:6912
	;; [unrolled: 1-line block ×5, first 2 shown]
	v_add_co_u32 v72, s0, 0x2800, v101
	v_add_co_ci_u32_e64 v73, s0, 0, v102, s0
	v_add_co_u32 v74, s0, 0x2800, v103
	v_add_co_ci_u32_e64 v75, s0, 0, v104, s0
	s_waitcnt lgkmcnt(0)
	s_barrier
	buffer_gl0_inv
	s_clause 0x3
	global_load_dwordx4 v[84:87], v[77:78], off
	global_load_dwordx4 v[80:83], v[81:82], off
	;; [unrolled: 1-line block ×4, first 2 shown]
	ds_read_b64 v[88:89], v115 offset:10368
	ds_read_b64 v[94:95], v115 offset:20736
	;; [unrolled: 1-line block ×8, first 2 shown]
	ds_read_b64 v[92:93], v115
	ds_read_b64 v[90:91], v115 offset:2592
	ds_read_b64 v[96:97], v115 offset:5184
	;; [unrolled: 1-line block ×3, first 2 shown]
	s_waitcnt vmcnt(3) lgkmcnt(11)
	v_mul_f32_e32 v132, v89, v85
	v_mul_f32_e32 v133, v88, v85
	s_waitcnt lgkmcnt(10)
	v_mul_f32_e32 v134, v95, v87
	v_mul_f32_e32 v135, v94, v87
	s_waitcnt vmcnt(2) lgkmcnt(9)
	v_mul_f32_e32 v136, v99, v81
	v_mul_f32_e32 v137, v98, v81
	s_waitcnt lgkmcnt(8)
	v_mul_f32_e32 v138, v101, v83
	v_mul_f32_e32 v139, v100, v83
	;; [unrolled: 6-line block ×4, first 2 shown]
	v_fma_f32 v88, v88, v84, -v132
	v_fmac_f32_e32 v133, v89, v84
	v_fma_f32 v89, v94, v86, -v134
	v_fmac_f32_e32 v135, v95, v86
	;; [unrolled: 2-line block ×8, first 2 shown]
	v_sub_f32_e32 v103, v133, v135
	s_waitcnt lgkmcnt(3)
	v_add_f32_e32 v101, v93, v133
	v_add_f32_e32 v104, v133, v135
	;; [unrolled: 1-line block ×3, first 2 shown]
	s_waitcnt lgkmcnt(2)
	v_add_f32_e32 v108, v91, v137
	v_sub_f32_e32 v111, v137, v139
	v_add_f32_e32 v132, v137, v139
	v_add_f32_e32 v133, v94, v98
	v_sub_f32_e32 v136, v141, v143
	s_waitcnt lgkmcnt(1)
	v_add_f32_e32 v137, v97, v141
	v_add_f32_e32 v138, v141, v143
	;; [unrolled: 1-line block ×3, first 2 shown]
	s_waitcnt lgkmcnt(0)
	v_add_f32_e32 v144, v107, v145
	v_sub_f32_e32 v146, v145, v147
	v_add_f32_e32 v145, v145, v147
	v_add_f32_e32 v149, v100, v102
	;; [unrolled: 1-line block ×3, first 2 shown]
	v_sub_f32_e32 v88, v88, v89
	v_add_f32_e32 v109, v90, v94
	v_sub_f32_e32 v134, v94, v98
	v_add_f32_e32 v140, v96, v95
	;; [unrolled: 2-line block ×3, first 2 shown]
	v_sub_f32_e32 v150, v100, v102
	v_fma_f32 v92, -0.5, v110, v92
	v_fmac_f32_e32 v93, -0.5, v104
	v_fma_f32 v90, -0.5, v133, v90
	v_fmac_f32_e32 v91, -0.5, v132
	;; [unrolled: 2-line block ×4, first 2 shown]
	v_add_f32_e32 v101, v101, v135
	v_add_f32_e32 v100, v105, v89
	;; [unrolled: 1-line block ×8, first 2 shown]
	v_fmamk_f32 v102, v103, 0x3f5db3d7, v92
	v_fmac_f32_e32 v92, 0xbf5db3d7, v103
	v_fmamk_f32 v103, v88, 0xbf5db3d7, v93
	v_fmac_f32_e32 v93, 0x3f5db3d7, v88
	;; [unrolled: 2-line block ×8, first 2 shown]
	ds_write_b64 v115, v[100:101]
	ds_write_b64 v115, v[94:95] offset:2592
	ds_write_b64 v115, v[108:109] offset:5184
	;; [unrolled: 1-line block ×11, first 2 shown]
	s_waitcnt lgkmcnt(0)
	s_barrier
	buffer_gl0_inv
	s_and_saveexec_b32 s3, vcc_lo
	s_cbranch_execz .LBB0_11
; %bb.10:
	v_add_co_u32 v161, s0, s14, v113
	v_add_co_ci_u32_e64 v163, null, s15, 0, s0
	v_add_nc_u32_e32 v170, 0x780, v113
	v_add_co_u32 v132, s0, 0x7800, v161
	v_add_co_ci_u32_e64 v133, s0, 0, v163, s0
	v_add_co_u32 v138, s2, 0x7980, v161
	v_add_co_u32 v134, s0, 0x8800, v161
	global_load_dwordx2 v[132:133], v[132:133], off offset:384
	v_add_co_u32 v136, s1, 0x9000, v161
	v_add_co_ci_u32_e64 v139, s2, 0, v163, s2
	v_add_co_ci_u32_e64 v135, s0, 0, v163, s0
	;; [unrolled: 1-line block ×3, first 2 shown]
	s_clause 0x3
	global_load_dwordx2 v[138:139], v[138:139], off offset:1944
	global_load_dwordx2 v[140:141], v[134:135], off offset:176
	;; [unrolled: 1-line block ×4, first 2 shown]
	v_add_co_u32 v134, s0, 0x9800, v161
	v_add_co_u32 v144, s1, 0xa000, v161
	;; [unrolled: 1-line block ×3, first 2 shown]
	v_add_co_ci_u32_e64 v135, s0, 0, v163, s0
	v_add_co_ci_u32_e64 v145, s0, 0, v163, s1
	v_add_co_ci_u32_e64 v147, s0, 0, v163, s2
	s_clause 0x2
	global_load_dwordx2 v[148:149], v[134:135], off offset:1912
	global_load_dwordx2 v[144:145], v[144:145], off offset:1808
	;; [unrolled: 1-line block ×3, first 2 shown]
	v_add_co_u32 v134, s0, 0xb000, v161
	v_add_co_ci_u32_e64 v135, s0, 0, v163, s0
	v_add_co_u32 v152, s1, 0xc000, v161
	v_add_co_u32 v154, s2, 0xc800, v161
	global_load_dwordx2 v[150:151], v[134:135], off offset:1600
	v_add_co_u32 v134, s0, 0xb800, v161
	v_add_co_ci_u32_e64 v135, s0, 0, v163, s0
	v_add_co_ci_u32_e64 v153, s0, 0, v163, s1
	v_add_co_ci_u32_e64 v155, s0, 0, v163, s2
	s_clause 0x2
	global_load_dwordx2 v[156:157], v[134:135], off offset:1496
	global_load_dwordx2 v[152:153], v[152:153], off offset:1392
	;; [unrolled: 1-line block ×3, first 2 shown]
	v_add_co_u32 v134, s0, 0xd000, v161
	v_add_co_ci_u32_e64 v135, s0, 0, v163, s0
	v_add_co_u32 v160, s1, 0xe000, v161
	v_add_co_u32 v162, s2, 0xe800, v161
	global_load_dwordx2 v[158:159], v[134:135], off offset:1184
	v_add_co_u32 v134, s0, 0xd800, v161
	v_add_co_ci_u32_e64 v135, s0, 0, v163, s0
	v_add_co_ci_u32_e64 v161, s0, 0, v163, s1
	;; [unrolled: 1-line block ×3, first 2 shown]
	s_clause 0x2
	global_load_dwordx2 v[164:165], v[134:135], off offset:1080
	global_load_dwordx2 v[160:161], v[160:161], off offset:976
	;; [unrolled: 1-line block ×3, first 2 shown]
	ds_read_b64 v[134:135], v115
	s_waitcnt vmcnt(15) lgkmcnt(0)
	v_mul_f32_e32 v166, v135, v133
	v_mul_f32_e32 v167, v134, v133
	v_fma_f32 v166, v134, v132, -v166
	v_fmac_f32_e32 v167, v135, v132
	ds_write_b64 v115, v[166:167]
	ds_read2_b64 v[132:135], v170 offset0:3 offset1:246
	ds_read_b64 v[166:167], v113 offset:5832
	s_waitcnt vmcnt(14) lgkmcnt(1)
	v_mul_f32_e32 v168, v133, v139
	v_mul_f32_e32 v169, v132, v139
	s_waitcnt vmcnt(13)
	v_mul_f32_e32 v171, v135, v141
	v_mul_f32_e32 v139, v134, v141
	s_waitcnt vmcnt(12) lgkmcnt(0)
	v_mul_f32_e32 v172, v167, v143
	v_mul_f32_e32 v141, v166, v143
	v_fma_f32 v168, v132, v138, -v168
	v_fmac_f32_e32 v169, v133, v138
	v_fma_f32 v138, v134, v140, -v171
	v_fmac_f32_e32 v139, v135, v140
	v_fma_f32 v140, v166, v142, -v172
	v_fmac_f32_e32 v141, v167, v142
	ds_write2_b64 v170, v[168:169], v[138:139] offset0:3 offset1:246
	ds_write_b64 v113, v[140:141] offset:5832
	ds_read_b64 v[132:133], v115 offset:7776
	v_add_nc_u32_e32 v166, 0x25c0, v113
	s_waitcnt vmcnt(11) lgkmcnt(0)
	v_mul_f32_e32 v134, v133, v137
	v_mul_f32_e32 v135, v132, v137
	v_fma_f32 v134, v132, v136, -v134
	v_fmac_f32_e32 v135, v133, v136
	ds_write_b64 v115, v[134:135] offset:7776
	ds_read2_b64 v[132:135], v166 offset0:7 offset1:250
	ds_read_b64 v[136:137], v113 offset:13608
	s_waitcnt vmcnt(10) lgkmcnt(1)
	v_mul_f32_e32 v138, v133, v149
	v_mul_f32_e32 v139, v132, v149
	s_waitcnt vmcnt(9)
	v_mul_f32_e32 v140, v135, v145
	v_mul_f32_e32 v141, v134, v145
	s_waitcnt vmcnt(8) lgkmcnt(0)
	v_mul_f32_e32 v142, v137, v147
	v_mul_f32_e32 v143, v136, v147
	v_fma_f32 v138, v132, v148, -v138
	v_fmac_f32_e32 v139, v133, v148
	v_fma_f32 v140, v134, v144, -v140
	v_fmac_f32_e32 v141, v135, v144
	v_fma_f32 v142, v136, v146, -v142
	v_fmac_f32_e32 v143, v137, v146
	ds_write2_b64 v166, v[138:139], v[140:141] offset0:7 offset1:250
	ds_write_b64 v113, v[142:143] offset:13608
	ds_read_b64 v[132:133], v115 offset:15552
	v_add_nc_u32_e32 v144, 0x4400, v113
	s_waitcnt vmcnt(7) lgkmcnt(0)
	v_mul_f32_e32 v134, v133, v151
	v_mul_f32_e32 v135, v132, v151
	v_fma_f32 v134, v132, v150, -v134
	v_fmac_f32_e32 v135, v133, v150
	ds_write_b64 v115, v[134:135] offset:15552
	;; [unrolled: 27-line block ×3, first 2 shown]
	ds_read2_b64 v[132:135], v144 offset0:7 offset1:250
	ds_read_b64 v[136:137], v113 offset:29160
	s_waitcnt vmcnt(2) lgkmcnt(1)
	v_mul_f32_e32 v138, v133, v165
	v_mul_f32_e32 v139, v132, v165
	s_waitcnt vmcnt(1)
	v_mul_f32_e32 v140, v135, v161
	v_mul_f32_e32 v141, v134, v161
	s_waitcnt vmcnt(0) lgkmcnt(0)
	v_mul_f32_e32 v142, v137, v163
	v_mul_f32_e32 v143, v136, v163
	v_fma_f32 v138, v132, v164, -v138
	v_fmac_f32_e32 v139, v133, v164
	v_fma_f32 v140, v134, v160, -v140
	v_fmac_f32_e32 v141, v135, v160
	;; [unrolled: 2-line block ×3, first 2 shown]
	ds_write2_b64 v144, v[138:139], v[140:141] offset0:7 offset1:250
	ds_write_b64 v113, v[142:143] offset:29160
.LBB0_11:
	s_or_b32 exec_lo, exec_lo, s3
	s_waitcnt lgkmcnt(0)
	s_barrier
	buffer_gl0_inv
	s_and_saveexec_b32 s0, vcc_lo
	s_cbranch_execz .LBB0_13
; %bb.12:
	v_add_nc_u32_e32 v16, 0xf00, v115
	v_add_nc_u32_e32 v17, 0x1e00, v115
	v_add_nc_u32_e32 v18, 0x2d80, v115
	ds_read2_b64 v[100:103], v115 offset1:243
	v_add_nc_u32_e32 v19, 0x5b00, v115
	ds_read2_b64 v[92:95], v16 offset0:6 offset1:249
	ds_read2_b64 v[88:91], v17 offset0:12 offset1:255
	v_add_nc_u32_e32 v16, 0x3c80, v115
	v_add_nc_u32_e32 v17, 0x4bc0, v115
	v_add_nc_u32_e32 v20, 0x6a00, v115
	ds_read2_b64 v[108:111], v18 offset0:2 offset1:245
	ds_read2_b64 v[96:99], v16 offset0:8 offset1:251
	;; [unrolled: 1-line block ×5, first 2 shown]
.LBB0_13:
	s_or_b32 exec_lo, exec_lo, s0
	s_waitcnt lgkmcnt(0)
	s_barrier
	buffer_gl0_inv
	s_and_saveexec_b32 s0, vcc_lo
	s_cbranch_execz .LBB0_15
; %bb.14:
	v_sub_f32_e32 v107, v95, v107
	v_sub_f32_e32 v22, v110, v22
	;; [unrolled: 1-line block ×17, first 2 shown]
	v_add_f32_e32 v143, v17, v96
	v_fma_f32 v17, v89, 2.0, -v17
	v_fma_f32 v103, v103, 2.0, -v99
	;; [unrolled: 1-line block ×5, first 2 shown]
	v_sub_f32_e32 v132, v105, v20
	v_sub_f32_e32 v133, v97, v16
	v_add_f32_e32 v138, v21, v104
	v_add_f32_e32 v140, v23, v106
	;; [unrolled: 1-line block ×3, first 2 shown]
	v_sub_f32_e32 v110, v103, v89
	v_sub_f32_e32 v89, v94, v22
	v_fma_f32 v136, v95, 2.0, -v107
	v_fma_f32 v95, v102, 2.0, -v98
	;; [unrolled: 1-line block ×3, first 2 shown]
	v_sub_f32_e32 v135, v99, v18
	v_fma_f32 v101, v101, 2.0, -v97
	v_fma_f32 v92, v92, 2.0, -v104
	;; [unrolled: 1-line block ×3, first 2 shown]
	v_fmamk_f32 v142, v140, 0x3f3504f3, v141
	v_fmamk_f32 v144, v138, 0x3f3504f3, v143
	v_sub_f32_e32 v146, v95, v22
	v_fma_f32 v93, v93, 2.0, -v105
	v_fma_f32 v100, v100, 2.0, -v96
	;; [unrolled: 1-line block ×8, first 2 shown]
	v_fmamk_f32 v137, v132, 0x3f3504f3, v133
	v_fmamk_f32 v139, v134, 0x3f3504f3, v135
	v_sub_f32_e32 v108, v101, v17
	v_sub_f32_e32 v20, v92, v20
	v_fma_f32 v17, v111, 2.0, -v23
	v_fma_f32 v21, v109, 2.0, -v21
	;; [unrolled: 1-line block ×5, first 2 shown]
	v_fmac_f32_e32 v142, 0x3f3504f3, v134
	v_fmac_f32_e32 v144, 0x3f3504f3, v132
	v_fmamk_f32 v132, v97, 0xbf3504f3, v105
	v_fmamk_f32 v134, v90, 0xbf3504f3, v96
	v_fmac_f32_e32 v137, 0xbf3504f3, v138
	v_fmac_f32_e32 v139, 0xbf3504f3, v140
	v_sub_f32_e32 v102, v108, v20
	v_sub_f32_e32 v111, v110, v89
	;; [unrolled: 1-line block ×4, first 2 shown]
	v_fmamk_f32 v106, v22, 0xbf3504f3, v147
	v_fmamk_f32 v107, v91, 0xbf3504f3, v104
	v_sub_f32_e32 v138, v100, v16
	v_fmac_f32_e32 v132, 0x3f3504f3, v91
	v_fmac_f32_e32 v134, 0x3f3504f3, v22
	v_fmamk_f32 v17, v111, 0x3f3504f3, v102
	v_add_f32_e32 v109, v145, v146
	v_fmac_f32_e32 v106, 0xbf3504f3, v90
	v_fmac_f32_e32 v107, 0xbf3504f3, v97
	v_add_f32_e32 v140, v21, v138
	v_fma_f32 v148, v101, 2.0, -v108
	v_fma_f32 v21, v93, 2.0, -v21
	v_fma_f32 v149, v95, 2.0, -v146
	v_fma_f32 v88, v94, 2.0, -v89
	v_fma_f32 v101, v133, 2.0, -v137
	v_fma_f32 v133, v135, 2.0, -v139
	v_fma_f32 v20, v92, 2.0, -v20
	v_fma_f32 v92, v103, 2.0, -v110
	v_fma_f32 v93, v141, 2.0, -v142
	v_fma_f32 v135, v143, 2.0, -v144
	v_fma_f32 v108, v108, 2.0, -v102
	v_fma_f32 v110, v110, 2.0, -v111
	v_fmamk_f32 v90, v132, 0x3ec3ef15, v134
	v_fmac_f32_e32 v17, 0xbf3504f3, v109
	v_fmamk_f32 v91, v107, 0x3ec3ef15, v106
	v_fmamk_f32 v16, v109, 0x3f3504f3, v140
	v_sub_f32_e32 v151, v149, v88
	v_fma_f32 v100, v100, 2.0, -v138
	v_fma_f32 v88, v136, 2.0, -v145
	v_fmamk_f32 v99, v133, 0xbec3ef15, v101
	v_fmamk_f32 v98, v93, 0xbec3ef15, v135
	;; [unrolled: 1-line block ×3, first 2 shown]
	v_fma_f32 v109, v146, 2.0, -v109
	v_fmac_f32_e32 v90, 0x3f6c835e, v107
	v_fmac_f32_e32 v91, 0xbf6c835e, v132
	v_sub_f32_e32 v150, v148, v21
	v_fmac_f32_e32 v16, 0x3f3504f3, v111
	v_sub_f32_e32 v20, v100, v20
	v_sub_f32_e32 v111, v92, v88
	v_fmac_f32_e32 v99, 0xbf6c835e, v93
	v_fmac_f32_e32 v98, 0x3f6c835e, v133
	;; [unrolled: 1-line block ×3, first 2 shown]
	v_fma_f32 v133, v147, 2.0, -v106
	v_fma_f32 v104, v104, 2.0, -v107
	;; [unrolled: 1-line block ×7, first 2 shown]
	v_add_f32_e32 v88, v111, v20
	v_fma_f32 v103, v101, 2.0, -v99
	v_fma_f32 v101, v108, 2.0, -v97
	v_fmamk_f32 v107, v104, 0xbf6c835e, v133
	v_fmamk_f32 v106, v105, 0xbf6c835e, v132
	v_fma_f32 v108, v148, 2.0, -v150
	v_fma_f32 v92, v92, 2.0, -v111
	;; [unrolled: 1-line block ×4, first 2 shown]
	v_fmamk_f32 v96, v109, 0xbf3504f3, v134
	v_fmamk_f32 v19, v139, 0x3f6c835e, v137
	;; [unrolled: 1-line block ×3, first 2 shown]
	v_fmac_f32_e32 v107, 0xbec3ef15, v105
	v_fmac_f32_e32 v106, 0x3ec3ef15, v104
	v_sub_f32_e32 v105, v108, v92
	v_sub_f32_e32 v104, v100, v111
	v_fmac_f32_e32 v96, 0x3f3504f3, v110
	v_sub_f32_e32 v89, v150, v151
	v_fmac_f32_e32 v19, 0xbec3ef15, v142
	v_fmac_f32_e32 v18, 0x3ec3ef15, v139
	v_fma_f32 v111, v133, 2.0, -v107
	v_fma_f32 v110, v132, 2.0, -v106
	;; [unrolled: 1-line block ×4, first 2 shown]
	v_lshlrev_b32_e32 v116, 3, v116
	v_fma_f32 v21, v102, 2.0, -v17
	v_fma_f32 v102, v135, 2.0, -v98
	;; [unrolled: 1-line block ×8, first 2 shown]
	ds_write_b128 v116, v[108:111]
	ds_write_b128 v116, v[100:103] offset:16
	ds_write_b128 v116, v[92:95] offset:32
	;; [unrolled: 1-line block ×7, first 2 shown]
.LBB0_15:
	s_or_b32 exec_lo, exec_lo, s0
	s_waitcnt lgkmcnt(0)
	s_barrier
	buffer_gl0_inv
	ds_read_b64 v[16:17], v115 offset:10368
	ds_read_b64 v[18:19], v115 offset:20736
	;; [unrolled: 1-line block ×5, first 2 shown]
	ds_read_b64 v[90:91], v115
	ds_read_b64 v[92:93], v115 offset:2592
	ds_read_b64 v[94:95], v115 offset:5184
	;; [unrolled: 1-line block ×6, first 2 shown]
	s_waitcnt lgkmcnt(0)
	s_barrier
	buffer_gl0_inv
	v_mul_f32_e32 v104, v1, v17
	v_mul_f32_e32 v1, v1, v16
	;; [unrolled: 1-line block ×7, first 2 shown]
	v_fmac_f32_e32 v104, v0, v16
	v_fma_f32 v1, v0, v17, -v1
	v_fmac_f32_e32 v105, v2, v18
	v_fma_f32 v3, v2, v19, -v3
	v_mul_f32_e32 v0, v15, v22
	v_mul_f32_e32 v2, v9, v88
	v_fmac_f32_e32 v106, v12, v20
	v_fma_f32 v12, v12, v21, -v13
	v_mul_f32_e32 v13, v9, v89
	v_fmac_f32_e32 v107, v14, v22
	v_fma_f32 v9, v14, v23, -v0
	v_mul_f32_e32 v14, v11, v101
	v_mul_f32_e32 v0, v11, v100
	v_fma_f32 v11, v8, v89, -v2
	v_mul_f32_e32 v2, v5, v98
	v_mul_f32_e32 v15, v5, v99
	;; [unrolled: 1-line block ×3, first 2 shown]
	v_fma_f32 v16, v10, v101, -v0
	v_mul_f32_e32 v0, v7, v102
	v_fma_f32 v18, v4, v99, -v2
	v_add_f32_e32 v2, v104, v105
	v_add_f32_e32 v5, v1, v3
	v_fmac_f32_e32 v15, v4, v98
	v_fmac_f32_e32 v17, v6, v102
	v_add_f32_e32 v4, v90, v104
	v_fma_f32 v19, v6, v103, -v0
	v_fma_f32 v90, -0.5, v2, v90
	v_sub_f32_e32 v6, v1, v3
	v_add_f32_e32 v1, v91, v1
	v_fmac_f32_e32 v91, -0.5, v5
	v_add_f32_e32 v5, v106, v107
	v_add_f32_e32 v7, v12, v9
	v_fmac_f32_e32 v13, v8, v88
	v_fmac_f32_e32 v14, v10, v100
	v_add_f32_e32 v0, v4, v105
	v_sub_f32_e32 v4, v104, v105
	v_fmamk_f32 v2, v6, 0xbf5db3d7, v90
	v_fmac_f32_e32 v90, 0x3f5db3d7, v6
	v_add_f32_e32 v6, v92, v106
	v_fma_f32 v92, -0.5, v5, v92
	v_sub_f32_e32 v5, v12, v9
	v_add_f32_e32 v8, v93, v12
	v_fmac_f32_e32 v93, -0.5, v7
	v_sub_f32_e32 v10, v106, v107
	v_add_f32_e32 v1, v1, v3
	v_fmamk_f32 v3, v4, 0x3f5db3d7, v91
	v_fmac_f32_e32 v91, 0xbf5db3d7, v4
	v_add_f32_e32 v4, v6, v107
	v_fmamk_f32 v6, v5, 0xbf5db3d7, v92
	v_fmac_f32_e32 v92, 0x3f5db3d7, v5
	v_add_f32_e32 v5, v8, v9
	v_add_f32_e32 v8, v13, v14
	v_fmamk_f32 v7, v10, 0x3f5db3d7, v93
	v_add_f32_e32 v9, v94, v13
	v_fmac_f32_e32 v93, 0xbf5db3d7, v10
	v_add_f32_e32 v10, v11, v16
	v_fma_f32 v94, -0.5, v8, v94
	v_sub_f32_e32 v12, v11, v16
	v_add_f32_e32 v8, v9, v14
	v_add_f32_e32 v9, v95, v11
	v_fmac_f32_e32 v95, -0.5, v10
	v_sub_f32_e32 v13, v13, v14
	v_fmamk_f32 v10, v12, 0xbf5db3d7, v94
	v_fmac_f32_e32 v94, 0x3f5db3d7, v12
	v_add_f32_e32 v12, v15, v17
	v_add_f32_e32 v9, v9, v16
	v_fmamk_f32 v11, v13, 0x3f5db3d7, v95
	v_fmac_f32_e32 v95, 0xbf5db3d7, v13
	v_add_f32_e32 v13, v18, v19
	v_add_f32_e32 v14, v96, v15
	v_sub_f32_e32 v16, v18, v19
	v_add_f32_e32 v18, v97, v18
	v_fma_f32 v96, -0.5, v12, v96
	v_fmac_f32_e32 v97, -0.5, v13
	v_sub_f32_e32 v20, v15, v17
	v_add_f32_e32 v12, v14, v17
	v_add_f32_e32 v13, v18, v19
	v_fmamk_f32 v14, v16, 0xbf5db3d7, v96
	v_fmac_f32_e32 v96, 0x3f5db3d7, v16
	v_fmamk_f32 v15, v20, 0x3f5db3d7, v97
	v_fmac_f32_e32 v97, 0xbf5db3d7, v20
	ds_write2_b64 v119, v[0:1], v[2:3] offset1:16
	ds_write_b64 v119, v[90:91] offset:256
	ds_write2_b64 v120, v[4:5], v[6:7] offset1:16
	ds_write_b64 v120, v[92:93] offset:256
	;; [unrolled: 2-line block ×4, first 2 shown]
	s_waitcnt lgkmcnt(0)
	s_barrier
	buffer_gl0_inv
	ds_read_b64 v[0:1], v115 offset:10368
	ds_read_b64 v[2:3], v115 offset:20736
	ds_read_b64 v[4:5], v115 offset:12960
	ds_read_b64 v[6:7], v115 offset:23328
	ds_read_b64 v[8:9], v115 offset:25920
	ds_read_b64 v[10:11], v115 offset:15552
	ds_read_b64 v[12:13], v115 offset:18144
	ds_read_b64 v[14:15], v115
	ds_read_b64 v[16:17], v115 offset:2592
	ds_read_b64 v[18:19], v115 offset:5184
	;; [unrolled: 1-line block ×4, first 2 shown]
	s_waitcnt lgkmcnt(0)
	s_barrier
	buffer_gl0_inv
	v_mul_f32_e32 v88, v37, v1
	v_mul_f32_e32 v37, v37, v0
	;; [unrolled: 1-line block ×3, first 2 shown]
	v_fmac_f32_e32 v88, v36, v0
	v_mul_f32_e32 v0, v39, v2
	v_fma_f32 v1, v36, v1, -v37
	v_mul_f32_e32 v36, v33, v5
	v_fmac_f32_e32 v89, v38, v2
	v_mul_f32_e32 v2, v33, v4
	v_fma_f32 v3, v38, v3, -v0
	v_mul_f32_e32 v33, v35, v7
	v_fmac_f32_e32 v36, v32, v4
	v_mul_f32_e32 v0, v35, v6
	v_fma_f32 v5, v32, v5, -v2
	v_mul_f32_e32 v32, v29, v11
	v_mul_f32_e32 v2, v29, v10
	v_fmac_f32_e32 v33, v34, v6
	v_fma_f32 v7, v34, v7, -v0
	v_mul_f32_e32 v29, v31, v9
	v_fmac_f32_e32 v32, v28, v10
	v_fma_f32 v10, v28, v11, -v2
	v_mul_f32_e32 v28, v25, v13
	v_mul_f32_e32 v2, v25, v12
	;; [unrolled: 1-line block ×3, first 2 shown]
	v_add_f32_e32 v6, v1, v3
	v_fmac_f32_e32 v29, v30, v8
	v_fmac_f32_e32 v28, v24, v12
	v_fma_f32 v12, v24, v13, -v2
	v_add_f32_e32 v2, v88, v89
	v_fma_f32 v9, v30, v9, -v0
	v_mul_f32_e32 v25, v27, v23
	v_mul_f32_e32 v0, v27, v22
	v_add_f32_e32 v4, v14, v88
	v_fma_f32 v14, -0.5, v2, v14
	v_sub_f32_e32 v8, v1, v3
	v_add_f32_e32 v1, v15, v1
	v_fmac_f32_e32 v15, -0.5, v6
	v_add_f32_e32 v6, v36, v33
	v_fmac_f32_e32 v25, v26, v22
	v_fma_f32 v13, v26, v23, -v0
	v_add_f32_e32 v0, v4, v89
	v_sub_f32_e32 v4, v88, v89
	v_fmamk_f32 v2, v8, 0xbf5db3d7, v14
	v_fmac_f32_e32 v14, 0x3f5db3d7, v8
	v_add_f32_e32 v8, v16, v36
	v_add_f32_e32 v11, v5, v7
	v_fma_f32 v16, -0.5, v6, v16
	v_sub_f32_e32 v22, v5, v7
	v_add_f32_e32 v1, v1, v3
	v_fmamk_f32 v3, v4, 0x3f5db3d7, v15
	v_fmac_f32_e32 v15, 0xbf5db3d7, v4
	v_add_f32_e32 v4, v8, v33
	v_add_f32_e32 v5, v17, v5
	v_fmac_f32_e32 v17, -0.5, v11
	v_sub_f32_e32 v8, v36, v33
	v_fmamk_f32 v6, v22, 0xbf5db3d7, v16
	v_fmac_f32_e32 v16, 0x3f5db3d7, v22
	v_add_f32_e32 v11, v32, v29
	v_add_f32_e32 v22, v18, v32
	;; [unrolled: 1-line block ×4, first 2 shown]
	v_fmamk_f32 v7, v8, 0x3f5db3d7, v17
	v_fmac_f32_e32 v17, 0xbf5db3d7, v8
	v_fma_f32 v18, -0.5, v11, v18
	v_sub_f32_e32 v11, v10, v9
	v_add_f32_e32 v8, v22, v29
	v_add_f32_e32 v22, v19, v10
	v_fmac_f32_e32 v19, -0.5, v23
	v_sub_f32_e32 v23, v32, v29
	v_fmamk_f32 v10, v11, 0xbf5db3d7, v18
	v_fmac_f32_e32 v18, 0x3f5db3d7, v11
	v_add_f32_e32 v9, v22, v9
	v_add_f32_e32 v22, v28, v25
	v_fmamk_f32 v11, v23, 0x3f5db3d7, v19
	v_fmac_f32_e32 v19, 0xbf5db3d7, v23
	v_add_f32_e32 v23, v12, v13
	v_add_f32_e32 v24, v20, v28
	;; [unrolled: 1-line block ×3, first 2 shown]
	v_fma_f32 v20, -0.5, v22, v20
	v_sub_f32_e32 v26, v12, v13
	v_fmac_f32_e32 v21, -0.5, v23
	v_sub_f32_e32 v28, v28, v25
	v_add_f32_e32 v12, v24, v25
	v_add_f32_e32 v13, v27, v13
	v_fmamk_f32 v22, v26, 0xbf5db3d7, v20
	v_fmac_f32_e32 v20, 0x3f5db3d7, v26
	v_fmamk_f32 v23, v28, 0x3f5db3d7, v21
	v_fmac_f32_e32 v21, 0xbf5db3d7, v28
	ds_write2_b64 v124, v[0:1], v[2:3] offset1:48
	ds_write_b64 v124, v[14:15] offset:768
	ds_write2_b64 v123, v[4:5], v[6:7] offset1:48
	ds_write_b64 v123, v[16:17] offset:768
	;; [unrolled: 2-line block ×4, first 2 shown]
	s_waitcnt lgkmcnt(0)
	s_barrier
	buffer_gl0_inv
	ds_read_b64 v[0:1], v115 offset:10368
	ds_read_b64 v[2:3], v115 offset:20736
	;; [unrolled: 1-line block ×7, first 2 shown]
	ds_read_b64 v[14:15], v115
	ds_read_b64 v[16:17], v115 offset:2592
	ds_read_b64 v[18:19], v115 offset:5184
	;; [unrolled: 1-line block ×4, first 2 shown]
	s_waitcnt lgkmcnt(0)
	s_barrier
	buffer_gl0_inv
	v_mul_f32_e32 v24, v53, v1
	v_mul_f32_e32 v26, v55, v3
	;; [unrolled: 1-line block ×5, first 2 shown]
	v_fmac_f32_e32 v24, v52, v0
	v_mul_f32_e32 v0, v55, v2
	v_fmac_f32_e32 v26, v54, v2
	v_mul_f32_e32 v2, v49, v4
	v_fma_f32 v1, v52, v1, -v25
	v_mul_f32_e32 v25, v49, v5
	v_mul_f32_e32 v28, v45, v11
	v_fma_f32 v3, v54, v3, -v0
	v_fma_f32 v5, v48, v5, -v2
	v_mul_f32_e32 v2, v45, v10
	v_mul_f32_e32 v0, v51, v6
	v_fmac_f32_e32 v28, v44, v10
	v_mul_f32_e32 v30, v41, v13
	v_fmac_f32_e32 v25, v48, v4
	v_fma_f32 v10, v44, v11, -v2
	v_mul_f32_e32 v2, v41, v12
	v_fmac_f32_e32 v27, v50, v6
	v_fma_f32 v7, v50, v7, -v0
	;; [unrolled: 3-line block ×3, first 2 shown]
	v_add_f32_e32 v2, v24, v26
	v_add_f32_e32 v6, v1, v3
	v_fmac_f32_e32 v29, v46, v8
	v_fma_f32 v9, v46, v9, -v0
	v_mul_f32_e32 v31, v43, v23
	v_mul_f32_e32 v0, v43, v22
	v_add_f32_e32 v4, v14, v24
	v_fma_f32 v14, -0.5, v2, v14
	v_sub_f32_e32 v8, v1, v3
	v_add_f32_e32 v1, v15, v1
	v_fmac_f32_e32 v15, -0.5, v6
	v_add_f32_e32 v6, v25, v27
	v_fmac_f32_e32 v31, v42, v22
	v_fma_f32 v13, v42, v23, -v0
	v_add_f32_e32 v0, v4, v26
	v_sub_f32_e32 v4, v24, v26
	v_fmamk_f32 v2, v8, 0xbf5db3d7, v14
	v_fmac_f32_e32 v14, 0x3f5db3d7, v8
	v_add_f32_e32 v8, v16, v25
	v_add_f32_e32 v11, v5, v7
	v_fma_f32 v16, -0.5, v6, v16
	v_sub_f32_e32 v22, v5, v7
	v_add_f32_e32 v1, v1, v3
	v_fmamk_f32 v3, v4, 0x3f5db3d7, v15
	v_fmac_f32_e32 v15, 0xbf5db3d7, v4
	v_add_f32_e32 v4, v8, v27
	v_add_f32_e32 v5, v17, v5
	v_fmac_f32_e32 v17, -0.5, v11
	v_sub_f32_e32 v8, v25, v27
	v_fmamk_f32 v6, v22, 0xbf5db3d7, v16
	v_fmac_f32_e32 v16, 0x3f5db3d7, v22
	v_add_f32_e32 v11, v28, v29
	v_add_f32_e32 v22, v18, v28
	;; [unrolled: 1-line block ×4, first 2 shown]
	v_fmamk_f32 v7, v8, 0x3f5db3d7, v17
	v_fmac_f32_e32 v17, 0xbf5db3d7, v8
	v_fma_f32 v18, -0.5, v11, v18
	v_sub_f32_e32 v11, v10, v9
	v_add_f32_e32 v8, v22, v29
	v_add_f32_e32 v22, v19, v10
	v_fmac_f32_e32 v19, -0.5, v23
	v_sub_f32_e32 v23, v28, v29
	v_fmamk_f32 v10, v11, 0xbf5db3d7, v18
	v_fmac_f32_e32 v18, 0x3f5db3d7, v11
	v_add_f32_e32 v9, v22, v9
	v_add_f32_e32 v22, v30, v31
	v_fmamk_f32 v11, v23, 0x3f5db3d7, v19
	v_fmac_f32_e32 v19, 0xbf5db3d7, v23
	v_add_f32_e32 v23, v12, v13
	v_add_f32_e32 v24, v20, v30
	;; [unrolled: 1-line block ×3, first 2 shown]
	v_fma_f32 v20, -0.5, v22, v20
	v_sub_f32_e32 v25, v12, v13
	v_fmac_f32_e32 v21, -0.5, v23
	v_sub_f32_e32 v27, v30, v31
	v_add_f32_e32 v12, v24, v31
	v_add_f32_e32 v13, v26, v13
	v_fmamk_f32 v22, v25, 0xbf5db3d7, v20
	v_fmac_f32_e32 v20, 0x3f5db3d7, v25
	v_fmamk_f32 v23, v27, 0x3f5db3d7, v21
	v_fmac_f32_e32 v21, 0xbf5db3d7, v27
	ds_write2_b64 v128, v[0:1], v[2:3] offset1:144
	ds_write_b64 v128, v[14:15] offset:2304
	ds_write2_b64 v127, v[4:5], v[6:7] offset1:144
	ds_write_b64 v127, v[16:17] offset:2304
	;; [unrolled: 2-line block ×4, first 2 shown]
	s_waitcnt lgkmcnt(0)
	s_barrier
	buffer_gl0_inv
	ds_read_b64 v[0:1], v115 offset:10368
	ds_read_b64 v[2:3], v115 offset:20736
	;; [unrolled: 1-line block ×7, first 2 shown]
	ds_read_b64 v[14:15], v115
	ds_read_b64 v[16:17], v115 offset:2592
	ds_read_b64 v[18:19], v115 offset:5184
	;; [unrolled: 1-line block ×4, first 2 shown]
	s_waitcnt lgkmcnt(0)
	s_barrier
	buffer_gl0_inv
	v_mul_f32_e32 v24, v69, v1
	v_mul_f32_e32 v26, v71, v3
	;; [unrolled: 1-line block ×5, first 2 shown]
	v_fmac_f32_e32 v24, v68, v0
	v_mul_f32_e32 v0, v71, v2
	v_fmac_f32_e32 v26, v70, v2
	v_mul_f32_e32 v2, v65, v4
	v_fma_f32 v1, v68, v1, -v25
	v_mul_f32_e32 v25, v65, v5
	v_mul_f32_e32 v28, v61, v11
	v_fma_f32 v3, v70, v3, -v0
	v_fma_f32 v5, v64, v5, -v2
	v_mul_f32_e32 v2, v61, v10
	v_mul_f32_e32 v0, v67, v6
	v_fmac_f32_e32 v28, v60, v10
	v_mul_f32_e32 v30, v57, v13
	v_fmac_f32_e32 v25, v64, v4
	v_fma_f32 v10, v60, v11, -v2
	v_mul_f32_e32 v2, v57, v12
	v_fmac_f32_e32 v27, v66, v6
	v_fma_f32 v7, v66, v7, -v0
	;; [unrolled: 3-line block ×3, first 2 shown]
	v_add_f32_e32 v2, v24, v26
	v_add_f32_e32 v6, v1, v3
	v_fmac_f32_e32 v29, v62, v8
	v_fma_f32 v9, v62, v9, -v0
	v_mul_f32_e32 v31, v59, v23
	v_mul_f32_e32 v0, v59, v22
	v_add_f32_e32 v4, v14, v24
	v_fma_f32 v14, -0.5, v2, v14
	v_sub_f32_e32 v8, v1, v3
	v_add_f32_e32 v1, v15, v1
	v_fmac_f32_e32 v15, -0.5, v6
	v_add_f32_e32 v6, v25, v27
	v_fmac_f32_e32 v31, v58, v22
	v_fma_f32 v13, v58, v23, -v0
	v_add_f32_e32 v0, v4, v26
	v_sub_f32_e32 v4, v24, v26
	v_fmamk_f32 v2, v8, 0xbf5db3d7, v14
	v_fmac_f32_e32 v14, 0x3f5db3d7, v8
	v_add_f32_e32 v8, v16, v25
	v_add_f32_e32 v11, v5, v7
	v_fma_f32 v16, -0.5, v6, v16
	v_sub_f32_e32 v22, v5, v7
	v_add_f32_e32 v1, v1, v3
	v_fmamk_f32 v3, v4, 0x3f5db3d7, v15
	v_fmac_f32_e32 v15, 0xbf5db3d7, v4
	v_add_f32_e32 v4, v8, v27
	v_add_f32_e32 v5, v17, v5
	v_fmac_f32_e32 v17, -0.5, v11
	v_sub_f32_e32 v8, v25, v27
	v_fmamk_f32 v6, v22, 0xbf5db3d7, v16
	v_fmac_f32_e32 v16, 0x3f5db3d7, v22
	v_add_f32_e32 v11, v28, v29
	v_add_f32_e32 v22, v18, v28
	;; [unrolled: 1-line block ×4, first 2 shown]
	v_fmamk_f32 v7, v8, 0x3f5db3d7, v17
	v_fmac_f32_e32 v17, 0xbf5db3d7, v8
	v_fma_f32 v18, -0.5, v11, v18
	v_sub_f32_e32 v11, v10, v9
	v_add_f32_e32 v8, v22, v29
	v_add_f32_e32 v22, v19, v10
	v_fmac_f32_e32 v19, -0.5, v23
	v_sub_f32_e32 v23, v28, v29
	v_fmamk_f32 v10, v11, 0xbf5db3d7, v18
	v_fmac_f32_e32 v18, 0x3f5db3d7, v11
	v_add_f32_e32 v9, v22, v9
	v_add_f32_e32 v22, v30, v31
	v_fmamk_f32 v11, v23, 0x3f5db3d7, v19
	v_fmac_f32_e32 v19, 0xbf5db3d7, v23
	v_add_f32_e32 v23, v12, v13
	v_add_f32_e32 v24, v20, v30
	;; [unrolled: 1-line block ×3, first 2 shown]
	v_fma_f32 v20, -0.5, v22, v20
	v_sub_f32_e32 v25, v12, v13
	v_fmac_f32_e32 v21, -0.5, v23
	v_sub_f32_e32 v27, v30, v31
	v_add_f32_e32 v12, v24, v31
	v_add_f32_e32 v13, v26, v13
	v_fmamk_f32 v22, v25, 0xbf5db3d7, v20
	v_fmac_f32_e32 v20, 0x3f5db3d7, v25
	v_fmamk_f32 v23, v27, 0x3f5db3d7, v21
	v_fmac_f32_e32 v21, 0xbf5db3d7, v27
	ds_write_b64 v115, v[0:1]
	ds_write_b64 v115, v[2:3] offset:3456
	ds_write_b64 v115, v[14:15] offset:6912
	ds_write_b64 v130, v[4:5]
	ds_write_b64 v130, v[6:7] offset:3456
	ds_write_b64 v130, v[16:17] offset:6912
	;; [unrolled: 3-line block ×3, first 2 shown]
	ds_write_b64 v129, v[12:13] offset:20736
	ds_write_b64 v129, v[22:23] offset:24192
	ds_write_b64 v129, v[20:21] offset:27648
	s_waitcnt lgkmcnt(0)
	s_barrier
	buffer_gl0_inv
	ds_read_b64 v[0:1], v115 offset:10368
	ds_read_b64 v[2:3], v115 offset:20736
	ds_read_b64 v[4:5], v115 offset:12960
	ds_read_b64 v[6:7], v115 offset:23328
	ds_read_b64 v[8:9], v115 offset:25920
	ds_read_b64 v[10:11], v115 offset:15552
	ds_read_b64 v[12:13], v115 offset:18144
	ds_read_b64 v[14:15], v115
	ds_read_b64 v[16:17], v115 offset:2592
	ds_read_b64 v[18:19], v115 offset:5184
	;; [unrolled: 1-line block ×4, first 2 shown]
	s_waitcnt lgkmcnt(11)
	v_mul_f32_e32 v24, v85, v1
	s_waitcnt lgkmcnt(10)
	v_mul_f32_e32 v26, v87, v3
	v_mul_f32_e32 v25, v85, v0
	s_waitcnt lgkmcnt(8)
	v_mul_f32_e32 v27, v83, v7
	s_waitcnt lgkmcnt(7)
	v_mul_f32_e32 v29, v79, v9
	v_fmac_f32_e32 v24, v84, v0
	v_mul_f32_e32 v0, v87, v2
	v_fmac_f32_e32 v26, v86, v2
	v_mul_f32_e32 v2, v81, v4
	v_fma_f32 v1, v84, v1, -v25
	v_mul_f32_e32 v25, v81, v5
	s_waitcnt lgkmcnt(6)
	v_mul_f32_e32 v28, v77, v11
	v_fma_f32 v3, v86, v3, -v0
	v_fma_f32 v5, v80, v5, -v2
	v_mul_f32_e32 v2, v77, v10
	v_mul_f32_e32 v0, v83, v6
	v_fmac_f32_e32 v28, v76, v10
	s_waitcnt lgkmcnt(5)
	v_mul_f32_e32 v30, v73, v13
	v_fmac_f32_e32 v25, v80, v4
	v_fma_f32 v10, v76, v11, -v2
	v_mul_f32_e32 v2, v73, v12
	v_fmac_f32_e32 v27, v82, v6
	v_fma_f32 v7, v82, v7, -v0
	;; [unrolled: 3-line block ×3, first 2 shown]
	v_add_f32_e32 v2, v24, v26
	v_add_f32_e32 v6, v1, v3
	v_fmac_f32_e32 v29, v78, v8
	v_fma_f32 v9, v78, v9, -v0
	s_waitcnt lgkmcnt(0)
	v_mul_f32_e32 v31, v75, v23
	v_mul_f32_e32 v0, v75, v22
	v_add_f32_e32 v4, v14, v24
	v_fma_f32 v14, -0.5, v2, v14
	v_sub_f32_e32 v8, v1, v3
	v_add_f32_e32 v1, v15, v1
	v_fmac_f32_e32 v15, -0.5, v6
	v_add_f32_e32 v6, v25, v27
	v_fmac_f32_e32 v31, v74, v22
	v_fma_f32 v13, v74, v23, -v0
	v_add_f32_e32 v0, v4, v26
	v_sub_f32_e32 v4, v24, v26
	v_fmamk_f32 v2, v8, 0xbf5db3d7, v14
	v_fmac_f32_e32 v14, 0x3f5db3d7, v8
	v_add_f32_e32 v8, v16, v25
	v_add_f32_e32 v11, v5, v7
	v_fma_f32 v16, -0.5, v6, v16
	v_sub_f32_e32 v22, v5, v7
	v_add_f32_e32 v1, v1, v3
	v_fmamk_f32 v3, v4, 0x3f5db3d7, v15
	v_fmac_f32_e32 v15, 0xbf5db3d7, v4
	v_add_f32_e32 v4, v8, v27
	v_add_f32_e32 v5, v17, v5
	v_fmac_f32_e32 v17, -0.5, v11
	v_sub_f32_e32 v8, v25, v27
	v_fmamk_f32 v6, v22, 0xbf5db3d7, v16
	v_fmac_f32_e32 v16, 0x3f5db3d7, v22
	v_add_f32_e32 v11, v28, v29
	v_add_f32_e32 v22, v18, v28
	;; [unrolled: 1-line block ×4, first 2 shown]
	v_fmamk_f32 v7, v8, 0x3f5db3d7, v17
	v_fmac_f32_e32 v17, 0xbf5db3d7, v8
	v_fma_f32 v18, -0.5, v11, v18
	v_sub_f32_e32 v11, v10, v9
	v_add_f32_e32 v8, v22, v29
	v_add_f32_e32 v22, v19, v10
	v_fmac_f32_e32 v19, -0.5, v23
	v_sub_f32_e32 v23, v28, v29
	v_fmamk_f32 v10, v11, 0xbf5db3d7, v18
	v_fmac_f32_e32 v18, 0x3f5db3d7, v11
	v_add_f32_e32 v9, v22, v9
	v_add_f32_e32 v22, v30, v31
	v_fmamk_f32 v11, v23, 0x3f5db3d7, v19
	v_fmac_f32_e32 v19, 0xbf5db3d7, v23
	v_add_f32_e32 v23, v12, v13
	v_add_f32_e32 v24, v20, v30
	v_fma_f32 v20, -0.5, v22, v20
	v_sub_f32_e32 v25, v12, v13
	v_add_f32_e32 v26, v21, v12
	v_fmac_f32_e32 v21, -0.5, v23
	v_sub_f32_e32 v27, v30, v31
	v_add_f32_e32 v12, v24, v31
	v_fmamk_f32 v22, v25, 0xbf5db3d7, v20
	v_fmac_f32_e32 v20, 0x3f5db3d7, v25
	v_add_f32_e32 v13, v26, v13
	v_fmamk_f32 v23, v27, 0x3f5db3d7, v21
	v_fmac_f32_e32 v21, 0xbf5db3d7, v27
	ds_write_b64 v115, v[0:1]
	ds_write_b64 v115, v[2:3] offset:10368
	ds_write_b64 v115, v[14:15] offset:20736
	;; [unrolled: 1-line block ×11, first 2 shown]
	s_waitcnt lgkmcnt(0)
	s_barrier
	buffer_gl0_inv
	s_and_b32 exec_lo, exec_lo, vcc_lo
	s_cbranch_execz .LBB0_17
; %bb.16:
	v_add_co_u32 v0, s0, s14, v113
	v_add_co_ci_u32_e64 v1, null, s15, 0, s0
	s_clause 0x1
	global_load_dwordx2 v[14:15], v113, s[14:15]
	global_load_dwordx2 v[16:17], v113, s[14:15] offset:1944
	v_add_co_u32 v2, vcc_lo, 0x800, v0
	v_add_co_ci_u32_e32 v3, vcc_lo, 0, v1, vcc_lo
	v_add_co_u32 v4, vcc_lo, 0x1000, v0
	v_add_co_ci_u32_e32 v5, vcc_lo, 0, v1, vcc_lo
	;; [unrolled: 2-line block ×7, first 2 shown]
	s_clause 0x6
	global_load_dwordx2 v[20:21], v[2:3], off offset:1840
	global_load_dwordx2 v[22:23], v[4:5], off offset:1736
	;; [unrolled: 1-line block ×7, first 2 shown]
	v_add_co_u32 v2, vcc_lo, 0x4000, v0
	v_add_co_ci_u32_e32 v3, vcc_lo, 0, v1, vcc_lo
	v_add_co_u32 v4, vcc_lo, 0x4800, v0
	v_add_co_ci_u32_e32 v5, vcc_lo, 0, v1, vcc_lo
	;; [unrolled: 2-line block ×3, first 2 shown]
	s_clause 0x2
	global_load_dwordx2 v[32:33], v[2:3], off offset:1112
	global_load_dwordx2 v[34:35], v[4:5], off offset:1008
	;; [unrolled: 1-line block ×3, first 2 shown]
	v_mad_u64_u32 v[2:3], null, s6, v112, 0
	v_mad_u64_u32 v[4:5], null, s4, v114, 0
	ds_read_b64 v[44:45], v115
	ds_read_b64 v[46:47], v115 offset:7776
	ds_read_b64 v[48:49], v115 offset:15552
	;; [unrolled: 1-line block ×3, first 2 shown]
	v_add_nc_u32_e32 v10, 0x4400, v113
	s_mul_i32 s3, s5, 0x798
	s_mul_i32 s2, s4, 0x798
	s_mov_b32 s0, 0xa88f4696
	s_mov_b32 s1, 0x3f30db20
	v_mad_u64_u32 v[6:7], null, s7, v112, v[3:4]
	v_mad_u64_u32 v[7:8], null, s5, v114, v[5:6]
	v_mov_b32_e32 v3, v6
	v_add_nc_u32_e32 v6, 0x780, v113
	s_mul_hi_u32 s5, s4, 0x798
	s_add_i32 s3, s5, s3
	v_lshlrev_b64 v[2:3], 3, v[2:3]
	v_mov_b32_e32 v5, v7
	v_add_nc_u32_e32 v7, 0x25c0, v113
	v_lshlrev_b64 v[4:5], 3, v[4:5]
	v_add_co_u32 v2, vcc_lo, s12, v2
	v_add_co_ci_u32_e32 v3, vcc_lo, s13, v3, vcc_lo
	v_add_co_u32 v38, vcc_lo, v2, v4
	v_add_co_ci_u32_e32 v39, vcc_lo, v3, v5, vcc_lo
	ds_read2_b64 v[2:5], v6 offset0:3 offset1:246
	ds_read_b64 v[56:57], v113 offset:5832
	ds_read_b64 v[58:59], v113 offset:13608
	;; [unrolled: 1-line block ×4, first 2 shown]
	ds_read2_b64 v[6:9], v7 offset0:7 offset1:250
	ds_read2_b64 v[10:13], v10 offset0:11 offset1:254
	v_add_co_u32 v40, vcc_lo, v38, s2
	v_add_co_ci_u32_e32 v41, vcc_lo, s3, v39, vcc_lo
	v_add_co_u32 v42, vcc_lo, v40, s2
	v_add_co_ci_u32_e32 v43, vcc_lo, s3, v41, vcc_lo
	;; [unrolled: 2-line block ×8, first 2 shown]
	s_waitcnt vmcnt(11) lgkmcnt(10)
	v_mul_f32_e32 v72, v45, v15
	v_mul_f32_e32 v15, v44, v15
	s_waitcnt vmcnt(10) lgkmcnt(6)
	v_mul_f32_e32 v73, v3, v17
	v_mul_f32_e32 v17, v2, v17
	v_fmac_f32_e32 v72, v44, v14
	v_fma_f32 v44, v14, v45, -v15
	v_fmac_f32_e32 v73, v2, v16
	v_fma_f32 v74, v16, v3, -v17
	v_add_co_u32 v2, vcc_lo, v70, s2
	v_cvt_f64_f32_e32 v[14:15], v72
	v_cvt_f64_f32_e32 v[16:17], v44
	v_cvt_f64_f32_e32 v[44:45], v73
	v_cvt_f64_f32_e32 v[72:73], v74
	v_add_co_ci_u32_e32 v3, vcc_lo, s3, v71, vcc_lo
	s_waitcnt vmcnt(9)
	v_mul_f32_e32 v74, v5, v21
	v_mul_f32_e32 v21, v4, v21
	s_waitcnt vmcnt(8) lgkmcnt(5)
	v_mul_f32_e32 v75, v57, v23
	v_mul_f32_e32 v23, v56, v23
	s_waitcnt vmcnt(7)
	v_mul_f32_e32 v76, v47, v25
	v_mul_f32_e32 v25, v46, v25
	s_waitcnt vmcnt(6) lgkmcnt(1)
	v_mul_f32_e32 v77, v7, v27
	v_mul_f32_e32 v27, v6, v27
	s_waitcnt vmcnt(5)
	v_mul_f32_e32 v78, v9, v29
	v_mul_f32_e32 v29, v8, v29
	s_waitcnt vmcnt(4)
	v_mul_f32_e32 v79, v59, v31
	v_mul_f32_e32 v31, v58, v31
	v_fmac_f32_e32 v74, v4, v20
	v_fma_f32 v20, v20, v5, -v21
	s_waitcnt vmcnt(3)
	v_mul_f32_e32 v80, v49, v19
	v_mul_f32_e32 v19, v48, v19
	v_fmac_f32_e32 v75, v56, v22
	v_fma_f32 v21, v22, v57, -v23
	s_waitcnt vmcnt(2) lgkmcnt(0)
	v_mul_f32_e32 v81, v11, v33
	v_mul_f32_e32 v33, v10, v33
	s_waitcnt vmcnt(1)
	v_mul_f32_e32 v82, v13, v35
	v_mul_f32_e32 v35, v12, v35
	v_fmac_f32_e32 v76, v46, v24
	v_fma_f32 v22, v24, v47, -v25
	v_fmac_f32_e32 v77, v6, v26
	v_fma_f32 v23, v26, v7, -v27
	s_waitcnt vmcnt(0)
	v_mul_f32_e32 v83, v61, v37
	v_mul_f32_e32 v37, v60, v37
	v_fmac_f32_e32 v78, v8, v28
	v_fma_f32 v26, v28, v9, -v29
	v_fmac_f32_e32 v79, v58, v30
	v_fma_f32 v30, v30, v59, -v31
	v_cvt_f64_f32_e32 v[4:5], v74
	v_cvt_f64_f32_e32 v[6:7], v20
	v_fmac_f32_e32 v80, v48, v18
	v_fma_f32 v46, v18, v49, -v19
	v_fmac_f32_e32 v81, v10, v32
	v_fma_f32 v47, v32, v11, -v33
	v_cvt_f64_f32_e32 v[8:9], v75
	v_cvt_f64_f32_e32 v[10:11], v21
	v_fmac_f32_e32 v82, v12, v34
	v_fma_f32 v56, v34, v13, -v35
	v_cvt_f64_f32_e32 v[12:13], v76
	v_cvt_f64_f32_e32 v[18:19], v22
	;; [unrolled: 1-line block ×4, first 2 shown]
	v_fmac_f32_e32 v83, v60, v36
	v_fma_f32 v60, v36, v61, -v37
	v_cvt_f64_f32_e32 v[24:25], v78
	v_cvt_f64_f32_e32 v[26:27], v26
	v_cvt_f64_f32_e32 v[28:29], v79
	v_cvt_f64_f32_e32 v[30:31], v30
	v_cvt_f64_f32_e32 v[32:33], v80
	v_cvt_f64_f32_e32 v[34:35], v46
	v_cvt_f64_f32_e32 v[36:37], v81
	v_cvt_f64_f32_e32 v[46:47], v47
	v_cvt_f64_f32_e32 v[48:49], v82
	v_cvt_f64_f32_e32 v[56:57], v56
	v_cvt_f64_f32_e32 v[58:59], v83
	v_cvt_f64_f32_e32 v[60:61], v60
	v_mul_f64 v[14:15], v[14:15], s[0:1]
	v_mul_f64 v[16:17], v[16:17], s[0:1]
	;; [unrolled: 1-line block ×24, first 2 shown]
	v_cvt_f32_f64_e32 v14, v[14:15]
	v_cvt_f32_f64_e32 v15, v[16:17]
	;; [unrolled: 1-line block ×24, first 2 shown]
	v_add_co_u32 v28, vcc_lo, v2, s2
	v_add_co_ci_u32_e32 v29, vcc_lo, s3, v3, vcc_lo
	v_add_co_u32 v30, vcc_lo, 0x5800, v0
	v_add_co_ci_u32_e32 v31, vcc_lo, 0, v1, vcc_lo
	;; [unrolled: 2-line block ×3, first 2 shown]
	global_store_dwordx2 v[38:39], v[14:15], off
	global_store_dwordx2 v[40:41], v[16:17], off
	;; [unrolled: 1-line block ×12, first 2 shown]
	global_load_dwordx2 v[2:3], v[30:31], off offset:800
	v_add_co_u32 v6, vcc_lo, v32, s2
	v_add_co_ci_u32_e32 v7, vcc_lo, s3, v33, vcc_lo
	s_waitcnt vmcnt(0)
	v_mul_f32_e32 v4, v51, v3
	v_mul_f32_e32 v3, v50, v3
	v_fmac_f32_e32 v4, v50, v2
	v_fma_f32 v5, v2, v51, -v3
	v_cvt_f64_f32_e32 v[2:3], v4
	v_cvt_f64_f32_e32 v[4:5], v5
	v_mul_f64 v[2:3], v[2:3], s[0:1]
	v_mul_f64 v[4:5], v[4:5], s[0:1]
	v_cvt_f32_f64_e32 v2, v[2:3]
	v_cvt_f32_f64_e32 v3, v[4:5]
	v_add_co_u32 v4, vcc_lo, 0x6000, v0
	v_add_co_ci_u32_e32 v5, vcc_lo, 0, v1, vcc_lo
	global_store_dwordx2 v[6:7], v[2:3], off
	global_load_dwordx2 v[8:9], v[4:5], off offset:696
	v_add_nc_u32_e32 v2, 0x6280, v113
	v_add_co_u32 v6, vcc_lo, v6, s2
	v_add_co_ci_u32_e32 v7, vcc_lo, s3, v7, vcc_lo
	ds_read2_b64 v[2:5], v2 offset0:7 offset1:250
	s_waitcnt vmcnt(0) lgkmcnt(0)
	v_mul_f32_e32 v10, v3, v9
	v_mul_f32_e32 v9, v2, v9
	v_fmac_f32_e32 v10, v2, v8
	v_fma_f32 v8, v8, v3, -v9
	v_cvt_f64_f32_e32 v[2:3], v10
	v_cvt_f64_f32_e32 v[8:9], v8
	v_mul_f64 v[2:3], v[2:3], s[0:1]
	v_mul_f64 v[8:9], v[8:9], s[0:1]
	v_cvt_f32_f64_e32 v2, v[2:3]
	v_cvt_f32_f64_e32 v3, v[8:9]
	v_add_co_u32 v8, vcc_lo, 0x6800, v0
	v_add_co_ci_u32_e32 v9, vcc_lo, 0, v1, vcc_lo
	global_store_dwordx2 v[6:7], v[2:3], off
	global_load_dwordx2 v[2:3], v[8:9], off offset:592
	s_waitcnt vmcnt(0)
	v_mul_f32_e32 v8, v5, v3
	v_mul_f32_e32 v3, v4, v3
	v_fmac_f32_e32 v8, v4, v2
	v_fma_f32 v4, v2, v5, -v3
	v_cvt_f64_f32_e32 v[2:3], v8
	v_cvt_f64_f32_e32 v[4:5], v4
	v_mul_f64 v[2:3], v[2:3], s[0:1]
	v_mul_f64 v[4:5], v[4:5], s[0:1]
	v_cvt_f32_f64_e32 v2, v[2:3]
	v_cvt_f32_f64_e32 v3, v[4:5]
	v_add_co_u32 v4, vcc_lo, v6, s2
	v_add_co_ci_u32_e32 v5, vcc_lo, s3, v7, vcc_lo
	v_add_co_u32 v0, vcc_lo, 0x7000, v0
	v_add_co_ci_u32_e32 v1, vcc_lo, 0, v1, vcc_lo
	global_store_dwordx2 v[4:5], v[2:3], off
	global_load_dwordx2 v[0:1], v[0:1], off offset:488
	s_waitcnt vmcnt(0)
	v_mul_f32_e32 v2, v63, v1
	v_mul_f32_e32 v1, v62, v1
	v_fmac_f32_e32 v2, v62, v0
	v_fma_f32 v3, v0, v63, -v1
	v_cvt_f64_f32_e32 v[0:1], v2
	v_cvt_f64_f32_e32 v[2:3], v3
	v_mul_f64 v[0:1], v[0:1], s[0:1]
	v_mul_f64 v[2:3], v[2:3], s[0:1]
	v_cvt_f32_f64_e32 v0, v[0:1]
	v_cvt_f32_f64_e32 v1, v[2:3]
	v_add_co_u32 v2, vcc_lo, v4, s2
	v_add_co_ci_u32_e32 v3, vcc_lo, s3, v5, vcc_lo
	global_store_dwordx2 v[2:3], v[0:1], off
.LBB0_17:
	s_endpgm
	.section	.rodata,"a",@progbits
	.p2align	6, 0x0
	.amdhsa_kernel bluestein_single_fwd_len3888_dim1_sp_op_CI_CI
		.amdhsa_group_segment_fixed_size 31104
		.amdhsa_private_segment_fixed_size 0
		.amdhsa_kernarg_size 104
		.amdhsa_user_sgpr_count 6
		.amdhsa_user_sgpr_private_segment_buffer 1
		.amdhsa_user_sgpr_dispatch_ptr 0
		.amdhsa_user_sgpr_queue_ptr 0
		.amdhsa_user_sgpr_kernarg_segment_ptr 1
		.amdhsa_user_sgpr_dispatch_id 0
		.amdhsa_user_sgpr_flat_scratch_init 0
		.amdhsa_user_sgpr_private_segment_size 0
		.amdhsa_wavefront_size32 1
		.amdhsa_uses_dynamic_stack 0
		.amdhsa_system_sgpr_private_segment_wavefront_offset 0
		.amdhsa_system_sgpr_workgroup_id_x 1
		.amdhsa_system_sgpr_workgroup_id_y 0
		.amdhsa_system_sgpr_workgroup_id_z 0
		.amdhsa_system_sgpr_workgroup_info 0
		.amdhsa_system_vgpr_workitem_id 0
		.amdhsa_next_free_vgpr 173
		.amdhsa_next_free_sgpr 16
		.amdhsa_reserve_vcc 1
		.amdhsa_reserve_flat_scratch 0
		.amdhsa_float_round_mode_32 0
		.amdhsa_float_round_mode_16_64 0
		.amdhsa_float_denorm_mode_32 3
		.amdhsa_float_denorm_mode_16_64 3
		.amdhsa_dx10_clamp 1
		.amdhsa_ieee_mode 1
		.amdhsa_fp16_overflow 0
		.amdhsa_workgroup_processor_mode 1
		.amdhsa_memory_ordered 1
		.amdhsa_forward_progress 0
		.amdhsa_shared_vgpr_count 0
		.amdhsa_exception_fp_ieee_invalid_op 0
		.amdhsa_exception_fp_denorm_src 0
		.amdhsa_exception_fp_ieee_div_zero 0
		.amdhsa_exception_fp_ieee_overflow 0
		.amdhsa_exception_fp_ieee_underflow 0
		.amdhsa_exception_fp_ieee_inexact 0
		.amdhsa_exception_int_div_zero 0
	.end_amdhsa_kernel
	.text
.Lfunc_end0:
	.size	bluestein_single_fwd_len3888_dim1_sp_op_CI_CI, .Lfunc_end0-bluestein_single_fwd_len3888_dim1_sp_op_CI_CI
                                        ; -- End function
	.section	.AMDGPU.csdata,"",@progbits
; Kernel info:
; codeLenInByte = 15384
; NumSgprs: 18
; NumVgprs: 173
; ScratchSize: 0
; MemoryBound: 0
; FloatMode: 240
; IeeeMode: 1
; LDSByteSize: 31104 bytes/workgroup (compile time only)
; SGPRBlocks: 2
; VGPRBlocks: 21
; NumSGPRsForWavesPerEU: 18
; NumVGPRsForWavesPerEU: 173
; Occupancy: 5
; WaveLimiterHint : 1
; COMPUTE_PGM_RSRC2:SCRATCH_EN: 0
; COMPUTE_PGM_RSRC2:USER_SGPR: 6
; COMPUTE_PGM_RSRC2:TRAP_HANDLER: 0
; COMPUTE_PGM_RSRC2:TGID_X_EN: 1
; COMPUTE_PGM_RSRC2:TGID_Y_EN: 0
; COMPUTE_PGM_RSRC2:TGID_Z_EN: 0
; COMPUTE_PGM_RSRC2:TIDIG_COMP_CNT: 0
	.text
	.p2alignl 6, 3214868480
	.fill 48, 4, 3214868480
	.type	__hip_cuid_90837afecb5803dd,@object ; @__hip_cuid_90837afecb5803dd
	.section	.bss,"aw",@nobits
	.globl	__hip_cuid_90837afecb5803dd
__hip_cuid_90837afecb5803dd:
	.byte	0                               ; 0x0
	.size	__hip_cuid_90837afecb5803dd, 1

	.ident	"AMD clang version 19.0.0git (https://github.com/RadeonOpenCompute/llvm-project roc-6.4.0 25133 c7fe45cf4b819c5991fe208aaa96edf142730f1d)"
	.section	".note.GNU-stack","",@progbits
	.addrsig
	.addrsig_sym __hip_cuid_90837afecb5803dd
	.amdgpu_metadata
---
amdhsa.kernels:
  - .args:
      - .actual_access:  read_only
        .address_space:  global
        .offset:         0
        .size:           8
        .value_kind:     global_buffer
      - .actual_access:  read_only
        .address_space:  global
        .offset:         8
        .size:           8
        .value_kind:     global_buffer
      - .actual_access:  read_only
        .address_space:  global
        .offset:         16
        .size:           8
        .value_kind:     global_buffer
      - .actual_access:  read_only
        .address_space:  global
        .offset:         24
        .size:           8
        .value_kind:     global_buffer
      - .actual_access:  read_only
        .address_space:  global
        .offset:         32
        .size:           8
        .value_kind:     global_buffer
      - .offset:         40
        .size:           8
        .value_kind:     by_value
      - .address_space:  global
        .offset:         48
        .size:           8
        .value_kind:     global_buffer
      - .address_space:  global
        .offset:         56
        .size:           8
        .value_kind:     global_buffer
      - .address_space:  global
        .offset:         64
        .size:           8
        .value_kind:     global_buffer
      - .address_space:  global
        .offset:         72
        .size:           8
        .value_kind:     global_buffer
      - .offset:         80
        .size:           4
        .value_kind:     by_value
      - .address_space:  global
        .offset:         88
        .size:           8
        .value_kind:     global_buffer
      - .address_space:  global
        .offset:         96
        .size:           8
        .value_kind:     global_buffer
    .group_segment_fixed_size: 31104
    .kernarg_segment_align: 8
    .kernarg_segment_size: 104
    .language:       OpenCL C
    .language_version:
      - 2
      - 0
    .max_flat_workgroup_size: 324
    .name:           bluestein_single_fwd_len3888_dim1_sp_op_CI_CI
    .private_segment_fixed_size: 0
    .sgpr_count:     18
    .sgpr_spill_count: 0
    .symbol:         bluestein_single_fwd_len3888_dim1_sp_op_CI_CI.kd
    .uniform_work_group_size: 1
    .uses_dynamic_stack: false
    .vgpr_count:     173
    .vgpr_spill_count: 0
    .wavefront_size: 32
    .workgroup_processor_mode: 1
amdhsa.target:   amdgcn-amd-amdhsa--gfx1030
amdhsa.version:
  - 1
  - 2
...

	.end_amdgpu_metadata
